;; amdgpu-corpus repo=ROCm/rocFFT kind=compiled arch=gfx1100 opt=O3
	.text
	.amdgcn_target "amdgcn-amd-amdhsa--gfx1100"
	.amdhsa_code_object_version 6
	.protected	bluestein_single_fwd_len1274_dim1_dp_op_CI_CI ; -- Begin function bluestein_single_fwd_len1274_dim1_dp_op_CI_CI
	.globl	bluestein_single_fwd_len1274_dim1_dp_op_CI_CI
	.p2align	8
	.type	bluestein_single_fwd_len1274_dim1_dp_op_CI_CI,@function
bluestein_single_fwd_len1274_dim1_dp_op_CI_CI: ; @bluestein_single_fwd_len1274_dim1_dp_op_CI_CI
; %bb.0:
	s_load_b128 s[8:11], s[0:1], 0x28
	v_mul_u32_u24_e32 v1, 0x169, v0
	s_mov_b32 s2, exec_lo
	v_mov_b32_e32 v7, 0
	s_delay_alu instid0(VALU_DEP_2) | instskip(NEXT) | instid1(VALU_DEP_1)
	v_lshrrev_b32_e32 v1, 16, v1
	v_add_nc_u32_e32 v6, s15, v1
	s_waitcnt lgkmcnt(0)
	s_delay_alu instid0(VALU_DEP_1)
	v_cmpx_gt_u64_e64 s[8:9], v[6:7]
	s_cbranch_execz .LBB0_23
; %bb.1:
	s_clause 0x1
	s_load_b128 s[4:7], s[0:1], 0x18
	s_load_b64 s[2:3], s[0:1], 0x0
	v_mul_lo_u16 v1, 0xb6, v1
	v_mov_b32_e32 v4, v6
	s_delay_alu instid0(VALU_DEP_2) | instskip(NEXT) | instid1(VALU_DEP_1)
	v_sub_nc_u16 v23, v0, v1
	v_and_b32_e32 v92, 0xffff, v23
	s_delay_alu instid0(VALU_DEP_1)
	v_lshlrev_b32_e32 v255, 4, v92
	s_waitcnt lgkmcnt(0)
	s_load_b128 s[12:15], s[4:5], 0x0
	s_clause 0x1
	global_load_b128 v[56:59], v255, s[2:3]
	global_load_b128 v[60:63], v255, s[2:3] offset:2912
	v_add_co_u32 v176, s4, s2, v255
	s_delay_alu instid0(VALU_DEP_1) | instskip(NEXT) | instid1(VALU_DEP_2)
	v_add_co_ci_u32_e64 v16, null, s3, 0, s4
	v_add_co_u32 v7, vcc_lo, 0x2000, v176
	s_delay_alu instid0(VALU_DEP_2)
	v_add_co_ci_u32_e32 v8, vcc_lo, 0, v16, vcc_lo
	scratch_store_b64 off, v[4:5], off      ; 8-byte Folded Spill
	v_add_co_u32 v14, vcc_lo, 0x3000, v176
	scratch_store_b64 off, v[7:8], off offset:28 ; 8-byte Folded Spill
	v_add_co_ci_u32_e32 v15, vcc_lo, 0, v16, vcc_lo
	v_add_co_u32 v17, vcc_lo, 0x1000, v176
	s_waitcnt lgkmcnt(0)
	v_mad_u64_u32 v[0:1], null, s14, v6, 0
	v_mad_u64_u32 v[2:3], null, s12, v92, 0
	v_add_co_ci_u32_e32 v18, vcc_lo, 0, v16, vcc_lo
	s_mul_i32 s3, s13, 0x27d
	s_mul_hi_u32 s5, s12, 0x27d
	s_mul_i32 s2, s12, 0x27d
	s_add_i32 s3, s5, s3
	s_delay_alu instid0(VALU_DEP_2)
	v_mad_u64_u32 v[4:5], null, s15, v6, v[1:2]
	s_mul_hi_u32 s9, s12, 0xfffffe39
	s_mul_i32 s8, s13, 0xfffffe39
	s_sub_i32 s5, s9, s12
	s_mul_i32 s4, s12, 0xfffffe39
	s_add_i32 s5, s5, s8
	s_clause 0x1
	global_load_b128 v[64:67], v[7:8], off offset:2000
	global_load_b128 v[68:71], v[14:15], off offset:816
	v_mov_b32_e32 v1, v4
	v_mad_u64_u32 v[5:6], null, s13, v92, v[3:4]
	s_delay_alu instid0(VALU_DEP_2) | instskip(NEXT) | instid1(VALU_DEP_2)
	v_lshlrev_b64 v[0:1], 4, v[0:1]
	v_mov_b32_e32 v3, v5
	s_delay_alu instid0(VALU_DEP_2) | instskip(NEXT) | instid1(VALU_DEP_3)
	v_add_co_u32 v0, vcc_lo, s10, v0
	v_add_co_ci_u32_e32 v1, vcc_lo, s11, v1, vcc_lo
	s_delay_alu instid0(VALU_DEP_3) | instskip(SKIP_2) | instid1(VALU_DEP_1)
	v_lshlrev_b64 v[2:3], 4, v[2:3]
	s_lshl_b64 s[10:11], s[2:3], 4
	s_lshl_b64 s[2:3], s[4:5], 4
	v_add_co_u32 v0, vcc_lo, v0, v2
	s_delay_alu instid0(VALU_DEP_2) | instskip(NEXT) | instid1(VALU_DEP_2)
	v_add_co_ci_u32_e32 v1, vcc_lo, v1, v3, vcc_lo
	v_add_co_u32 v6, vcc_lo, v0, s10
	s_delay_alu instid0(VALU_DEP_2) | instskip(NEXT) | instid1(VALU_DEP_2)
	v_add_co_ci_u32_e32 v7, vcc_lo, s11, v1, vcc_lo
	v_add_co_u32 v10, vcc_lo, v6, s2
	s_delay_alu instid0(VALU_DEP_2)
	v_add_co_ci_u32_e32 v11, vcc_lo, s3, v7, vcc_lo
	s_clause 0x1
	global_load_b128 v[2:5], v[0:1], off
	global_load_b128 v[6:9], v[6:7], off
	v_add_co_u32 v19, vcc_lo, v10, s10
	v_add_co_ci_u32_e32 v20, vcc_lo, s11, v11, vcc_lo
	global_load_b128 v[10:13], v[10:11], off
	v_add_co_u32 v21, vcc_lo, v19, s2
	v_add_co_ci_u32_e32 v22, vcc_lo, s3, v20, vcc_lo
	s_delay_alu instid0(VALU_DEP_2) | instskip(NEXT) | instid1(VALU_DEP_2)
	v_add_co_u32 v0, vcc_lo, v21, s10
	v_add_co_ci_u32_e32 v1, vcc_lo, s11, v22, vcc_lo
	global_load_b128 v[24:27], v[19:20], off
	global_load_b128 v[72:75], v[17:18], off offset:1728
	global_load_b128 v[28:31], v[21:22], off
	global_load_b128 v[19:22], v[14:15], off offset:3728
	global_load_b128 v[32:35], v[0:1], off
	v_cmp_gt_u16_e32 vcc_lo, 0x5b, v23
	s_waitcnt vmcnt(11)
	scratch_store_b128 off, v[56:59], off offset:12 ; 16-byte Folded Spill
	s_waitcnt vmcnt(10)
	scratch_store_b128 off, v[60:63], off offset:36 ; 16-byte Folded Spill
	;; [unrolled: 2-line block ×4, first 2 shown]
	s_waitcnt vmcnt(7)
	v_mul_f64 v[14:15], v[4:5], v[58:59]
	v_mul_f64 v[17:18], v[2:3], v[58:59]
	s_waitcnt vmcnt(6)
	v_mul_f64 v[36:37], v[8:9], v[66:67]
	v_mul_f64 v[38:39], v[6:7], v[66:67]
	;; [unrolled: 3-line block ×6, first 2 shown]
	s_clause 0x1
	scratch_store_b128 off, v[72:75], off offset:84
	scratch_store_b128 off, v[19:22], off offset:100
	s_load_b64 s[8:9], s[0:1], 0x38
	s_load_b128 s[4:7], s[6:7], 0x0
	v_fma_f64 v[2:3], v[2:3], v[56:57], v[14:15]
	v_fma_f64 v[4:5], v[4:5], v[56:57], -v[17:18]
	v_fma_f64 v[6:7], v[6:7], v[64:65], v[36:37]
	v_fma_f64 v[8:9], v[8:9], v[64:65], -v[38:39]
	;; [unrolled: 2-line block ×3, first 2 shown]
	ds_store_b128 v255, v[2:5]
	ds_store_b128 v255, v[10:13] offset:2912
	v_fma_f64 v[28:29], v[28:29], v[72:73], v[48:49]
	v_fma_f64 v[30:31], v[30:31], v[72:73], -v[50:51]
	v_fma_f64 v[24:25], v[24:25], v[68:69], v[44:45]
	v_fma_f64 v[26:27], v[26:27], v[68:69], -v[46:47]
	;; [unrolled: 2-line block ×3, first 2 shown]
	ds_store_b128 v255, v[6:9] offset:10192
	ds_store_b128 v255, v[28:31] offset:5824
	;; [unrolled: 1-line block ×4, first 2 shown]
	s_and_saveexec_b32 s12, vcc_lo
	s_cbranch_execz .LBB0_3
; %bb.2:
	v_add_co_u32 v0, s2, v0, s2
	s_delay_alu instid0(VALU_DEP_1) | instskip(SKIP_1) | instid1(VALU_DEP_1)
	v_add_co_ci_u32_e64 v1, s2, s3, v1, s2
	v_add_co_u32 v8, s2, 0x4000, v176
	v_add_co_ci_u32_e64 v9, s2, 0, v16, s2
	s_delay_alu instid0(VALU_DEP_4) | instskip(NEXT) | instid1(VALU_DEP_1)
	v_add_co_u32 v12, s2, v0, s10
	v_add_co_ci_u32_e64 v13, s2, s11, v1, s2
	global_load_b128 v[0:3], v[0:1], off
	scratch_load_b64 v[4:5], off, off offset:28 ; 8-byte Folded Reload
	s_waitcnt vmcnt(0)
	s_clause 0x1
	global_load_b128 v[4:7], v[4:5], off offset:544
	global_load_b128 v[8:11], v[8:9], off offset:2544
	global_load_b128 v[12:15], v[12:13], off
	s_waitcnt vmcnt(2)
	v_mul_f64 v[17:18], v[2:3], v[6:7]
	v_mul_f64 v[6:7], v[0:1], v[6:7]
	s_waitcnt vmcnt(0)
	v_mul_f64 v[24:25], v[14:15], v[10:11]
	v_mul_f64 v[10:11], v[12:13], v[10:11]
	s_delay_alu instid0(VALU_DEP_4) | instskip(NEXT) | instid1(VALU_DEP_4)
	v_fma_f64 v[0:1], v[0:1], v[4:5], v[17:18]
	v_fma_f64 v[2:3], v[2:3], v[4:5], -v[6:7]
	s_delay_alu instid0(VALU_DEP_4) | instskip(NEXT) | instid1(VALU_DEP_4)
	v_fma_f64 v[4:5], v[12:13], v[8:9], v[24:25]
	v_fma_f64 v[6:7], v[14:15], v[8:9], -v[10:11]
	ds_store_b128 v255, v[0:3] offset:8736
	ds_store_b128 v255, v[4:7] offset:18928
.LBB0_3:
	s_or_b32 exec_lo, exec_lo, s12
	s_waitcnt lgkmcnt(0)
	s_waitcnt_vscnt null, 0x0
	s_barrier
	buffer_gl0_inv
	ds_load_b128 v[24:27], v255
	ds_load_b128 v[32:35], v255 offset:2912
	ds_load_b128 v[28:31], v255 offset:10192
	;; [unrolled: 1-line block ×5, first 2 shown]
                                        ; implicit-def: $vgpr48_vgpr49
                                        ; implicit-def: $vgpr52_vgpr53
	s_and_saveexec_b32 s2, vcc_lo
	s_cbranch_execz .LBB0_5
; %bb.4:
	ds_load_b128 v[48:51], v255 offset:8736
	ds_load_b128 v[52:55], v255 offset:18928
.LBB0_5:
	s_or_b32 exec_lo, exec_lo, s2
	s_waitcnt lgkmcnt(3)
	v_add_f64 v[28:29], v[24:25], -v[28:29]
	v_add_f64 v[30:31], v[26:27], -v[30:31]
	s_waitcnt lgkmcnt(1)
	v_add_f64 v[44:45], v[32:33], -v[44:45]
	v_add_f64 v[46:47], v[34:35], -v[46:47]
	s_waitcnt lgkmcnt(0)
	v_add_f64 v[64:65], v[36:37], -v[40:41]
	v_add_f64 v[66:67], v[38:39], -v[42:43]
	v_add_f64 v[56:57], v[48:49], -v[52:53]
	v_add_f64 v[58:59], v[50:51], -v[54:55]
	s_load_b64 s[2:3], s[0:1], 0x8
	v_lshlrev_b16 v0, 1, v92
	v_add_co_u32 v1, null, 0x222, v92
	v_lshlrev_b32_e32 v3, 5, v92
	s_waitcnt lgkmcnt(0)
	s_delay_alu instid0(VALU_DEP_3)
	v_and_b32_e32 v0, 0xffff, v0
	s_barrier
	buffer_gl0_inv
	v_lshlrev_b32_e32 v2, 4, v0
	v_lshlrev_b32_e32 v0, 5, v1
	s_clause 0x1
	scratch_store_b32 off, v2, off offset:124
	scratch_store_b32 off, v0, off offset:120
	v_fma_f64 v[52:53], v[24:25], 2.0, -v[28:29]
	v_fma_f64 v[54:55], v[26:27], 2.0, -v[30:31]
	;; [unrolled: 1-line block ×8, first 2 shown]
	ds_store_b128 v2, v[52:55]
	ds_store_b128 v2, v[28:31] offset:16
	ds_store_b128 v3, v[40:43] offset:5824
	;; [unrolled: 1-line block ×4, first 2 shown]
	scratch_store_b32 off, v3, off offset:128 ; 4-byte Folded Spill
	ds_store_b128 v3, v[64:67] offset:11664
	s_and_saveexec_b32 s0, vcc_lo
	s_cbranch_execz .LBB0_7
; %bb.6:
	scratch_load_b32 v0, off, off offset:120 ; 4-byte Folded Reload
	s_waitcnt vmcnt(0)
	ds_store_b128 v0, v[68:71]
	ds_store_b128 v0, v[56:59] offset:16
.LBB0_7:
	s_or_b32 exec_lo, exec_lo, s0
	v_cmp_gt_u16_e64 s0, 0x62, v92
	s_waitcnt lgkmcnt(0)
	s_waitcnt_vscnt null, 0x0
	s_barrier
	buffer_gl0_inv
                                        ; implicit-def: $vgpr72_vgpr73
                                        ; implicit-def: $vgpr80_vgpr81
                                        ; implicit-def: $vgpr84_vgpr85
                                        ; implicit-def: $vgpr48_vgpr49
                                        ; implicit-def: $vgpr60_vgpr61
	s_and_saveexec_b32 s1, s0
	s_cbranch_execz .LBB0_9
; %bb.8:
	ds_load_b128 v[52:55], v255
	ds_load_b128 v[28:31], v255 offset:1568
	ds_load_b128 v[40:43], v255 offset:3136
	;; [unrolled: 1-line block ×12, first 2 shown]
.LBB0_9:
	s_or_b32 exec_lo, exec_lo, s1
	v_and_b32_e32 v0, 1, v92
	s_mov_b32 s23, 0xbfddbe06
	s_mov_b32 s22, 0x4267c47c
	;; [unrolled: 1-line block ×4, first 2 shown]
	scratch_store_b32 off, v0, off offset:116 ; 4-byte Folded Spill
	v_mul_u32_u24_e32 v0, 12, v0
	s_mov_b32 s13, 0x3fec55a7
	s_mov_b32 s27, 0xbfea55e2
	;; [unrolled: 1-line block ×4, first 2 shown]
	v_lshlrev_b32_e32 v2, 4, v0
	s_mov_b32 s34, 0x66966769
	s_mov_b32 s35, 0xbfefc445
	;; [unrolled: 1-line block ×3, first 2 shown]
	s_clause 0x1
	global_load_b128 v[24:27], v2, s[2:3]
	global_load_b128 v[32:35], v2, s[2:3] offset:16
	s_mov_b32 s15, 0x3fbedb7d
	s_mov_b32 s24, 0x2ef20147
	;; [unrolled: 1-line block ×19, first 2 shown]
	s_waitcnt vmcnt(1) lgkmcnt(11)
	v_mul_f64 v[0:1], v[28:29], v[26:27]
	s_delay_alu instid0(VALU_DEP_1) | instskip(SKIP_1) | instid1(VALU_DEP_1)
	v_fma_f64 v[146:147], v[30:31], v[24:25], v[0:1]
	v_mul_f64 v[0:1], v[30:31], v[26:27]
	v_fma_f64 v[148:149], v[28:29], v[24:25], -v[0:1]
	s_clause 0x1
	global_load_b128 v[28:31], v2, s[2:3] offset:176
	global_load_b128 v[36:39], v2, s[2:3] offset:160
	s_waitcnt vmcnt(1) lgkmcnt(0)
	v_mul_f64 v[0:1], v[60:61], v[30:31]
	s_delay_alu instid0(VALU_DEP_1) | instskip(SKIP_1) | instid1(VALU_DEP_2)
	v_fma_f64 v[6:7], v[62:63], v[28:29], v[0:1]
	v_mul_f64 v[0:1], v[62:63], v[30:31]
	v_add_f64 v[4:5], v[146:147], -v[6:7]
	s_delay_alu instid0(VALU_DEP_2) | instskip(SKIP_2) | instid1(VALU_DEP_4)
	v_fma_f64 v[8:9], v[60:61], v[28:29], -v[0:1]
	v_mul_f64 v[0:1], v[42:43], v[34:35]
	v_add_f64 v[106:107], v[146:147], v[6:7]
	v_mul_f64 v[152:153], v[4:5], s[22:23]
	s_delay_alu instid0(VALU_DEP_4) | instskip(NEXT) | instid1(VALU_DEP_4)
	v_add_f64 v[156:157], v[148:149], v[8:9]
	v_fma_f64 v[17:18], v[40:41], v[32:33], -v[0:1]
	v_mul_f64 v[0:1], v[40:41], v[34:35]
	v_mul_f64 v[160:161], v[4:5], s[26:27]
	s_delay_alu instid0(VALU_DEP_2) | instskip(SKIP_2) | instid1(VALU_DEP_1)
	v_fma_f64 v[19:20], v[42:43], v[32:33], v[0:1]
	s_waitcnt vmcnt(0)
	v_mul_f64 v[0:1], v[48:49], v[38:39]
	v_fma_f64 v[10:11], v[50:51], v[36:37], v[0:1]
	v_mul_f64 v[0:1], v[50:51], v[38:39]
	s_delay_alu instid0(VALU_DEP_2) | instskip(NEXT) | instid1(VALU_DEP_2)
	v_add_f64 v[14:15], v[19:20], -v[10:11]
	v_fma_f64 v[12:13], v[48:49], v[36:37], -v[0:1]
	s_clause 0x1
	global_load_b128 v[40:43], v2, s[2:3] offset:32
	global_load_b128 v[48:51], v2, s[2:3] offset:48
	v_add_f64 v[154:155], v[19:20], v[10:11]
	v_mul_f64 v[191:192], v[14:15], s[24:25]
	v_add_f64 v[150:151], v[17:18], v[12:13]
	v_mul_f64 v[197:198], v[14:15], s[30:31]
	v_mul_f64 v[215:216], v[14:15], s[38:39]
	;; [unrolled: 1-line block ×3, first 2 shown]
	s_waitcnt vmcnt(1)
	v_mul_f64 v[0:1], v[46:47], v[42:43]
	s_delay_alu instid0(VALU_DEP_1) | instskip(SKIP_1) | instid1(VALU_DEP_1)
	v_fma_f64 v[21:22], v[44:45], v[40:41], -v[0:1]
	v_mul_f64 v[0:1], v[44:45], v[42:43]
	v_fma_f64 v[93:94], v[46:47], v[40:41], v[0:1]
	s_clause 0x5
	global_load_b128 v[44:47], v2, s[2:3] offset:144
	global_load_b128 v[60:63], v2, s[2:3] offset:128
	global_load_b128 v[88:91], v2, s[2:3] offset:64
	global_load_b128 v[112:115], v2, s[2:3] offset:80
	global_load_b128 v[108:111], v2, s[2:3] offset:112
	global_load_b128 v[116:119], v2, s[2:3] offset:96
	v_mul_f64 v[2:3], v[14:15], s[26:27]
	s_clause 0x2
	scratch_store_b64 off, v[8:9], off offset:140
	scratch_store_b64 off, v[6:7], off offset:132
	;; [unrolled: 1-line block ×3, first 2 shown]
	v_fma_f64 v[2:3], v[150:151], s[10:11], v[2:3]
	s_clause 0x3
	scratch_store_b64 off, v[12:13], off offset:156
	scratch_store_b64 off, v[17:18], off offset:164
	;; [unrolled: 1-line block ×4, first 2 shown]
	s_waitcnt vmcnt(5)
	v_mul_f64 v[0:1], v[86:87], v[46:47]
	s_delay_alu instid0(VALU_DEP_1) | instskip(SKIP_1) | instid1(VALU_DEP_2)
	v_fma_f64 v[95:96], v[84:85], v[44:45], -v[0:1]
	v_mul_f64 v[0:1], v[84:85], v[46:47]
	v_add_f64 v[158:159], v[21:22], v[95:96]
	s_delay_alu instid0(VALU_DEP_2) | instskip(SKIP_3) | instid1(VALU_DEP_4)
	v_fma_f64 v[84:85], v[86:87], v[44:45], v[0:1]
	v_mul_f64 v[0:1], v[78:79], v[50:51]
	v_add_f64 v[86:87], v[17:18], -v[12:13]
	v_add_f64 v[142:143], v[21:22], -v[95:96]
	v_add_f64 v[140:141], v[93:94], -v[84:85]
	s_delay_alu instid0(VALU_DEP_4)
	v_fma_f64 v[97:98], v[76:77], v[48:49], -v[0:1]
	v_mul_f64 v[0:1], v[76:77], v[50:51]
	v_mul_f64 v[6:7], v[86:87], s[26:27]
	v_add_f64 v[162:163], v[93:94], v[84:85]
	v_mul_f64 v[195:196], v[86:87], s[24:25]
	v_mul_f64 v[201:202], v[142:143], s[30:31]
	;; [unrolled: 1-line block ×7, first 2 shown]
	v_fma_f64 v[99:100], v[78:79], v[48:49], v[0:1]
	s_waitcnt vmcnt(4)
	v_mul_f64 v[0:1], v[80:81], v[62:63]
	v_add_f64 v[78:79], v[148:149], -v[8:9]
	scratch_store_b64 off, v[6:7], off offset:244 ; 8-byte Folded Spill
	v_fma_f64 v[6:7], v[154:155], s[10:11], -v[6:7]
	v_fma_f64 v[10:11], v[154:155], s[20:21], -v[213:214]
	v_mul_f64 v[249:250], v[140:141], s[26:27]
	v_fma_f64 v[12:13], v[154:155], s[18:19], -v[237:238]
	v_fma_f64 v[76:77], v[82:83], v[60:61], v[0:1]
	v_mul_f64 v[0:1], v[82:83], v[62:63]
	v_mul_f64 v[104:105], v[78:79], s[22:23]
	;; [unrolled: 1-line block ×3, first 2 shown]
	s_mov_b32 s23, 0x3fddbe06
	s_delay_alu instid0(SALU_CYCLE_1)
	v_mul_f64 v[227:228], v[140:141], s[22:23]
	v_mul_f64 v[243:244], v[142:143], s[22:23]
	v_add_f64 v[144:145], v[99:100], -v[76:77]
	v_fma_f64 v[80:81], v[80:81], v[60:61], -v[0:1]
	s_waitcnt vmcnt(3)
	v_mul_f64 v[0:1], v[64:65], v[90:91]
	v_add_f64 v[170:171], v[99:100], v[76:77]
	s_delay_alu instid0(VALU_DEP_4) | instskip(NEXT) | instid1(VALU_DEP_4)
	v_mul_f64 v[199:200], v[144:145], s[38:39]
	v_add_f64 v[166:167], v[97:98], v[80:81]
	s_delay_alu instid0(VALU_DEP_4) | instskip(SKIP_4) | instid1(VALU_DEP_4)
	v_fma_f64 v[82:83], v[66:67], v[88:89], v[0:1]
	v_mul_f64 v[0:1], v[66:67], v[90:91]
	v_add_f64 v[164:165], v[97:98], -v[80:81]
	v_mul_f64 v[217:218], v[144:145], s[22:23]
	v_mul_f64 v[233:234], v[144:145], s[34:35]
	v_fma_f64 v[64:65], v[64:65], v[88:89], -v[0:1]
	s_waitcnt vmcnt(2)
	v_mul_f64 v[0:1], v[70:71], v[114:115]
	v_mul_f64 v[207:208], v[164:165], s[38:39]
	;; [unrolled: 1-line block ×4, first 2 shown]
	s_mov_b32 s39, 0x3fea55e2
	s_mov_b32 s38, s26
	s_delay_alu instid0(SALU_CYCLE_1) | instskip(SKIP_2) | instid1(VALU_DEP_1)
	v_mul_f64 v[187:188], v[144:145], s[38:39]
	v_fma_f64 v[66:67], v[68:69], v[112:113], -v[0:1]
	v_mul_f64 v[0:1], v[68:69], v[114:115]
	v_fma_f64 v[68:69], v[70:71], v[112:113], v[0:1]
	s_waitcnt vmcnt(1)
	v_mul_f64 v[0:1], v[72:73], v[110:111]
	s_delay_alu instid0(VALU_DEP_1) | instskip(SKIP_1) | instid1(VALU_DEP_2)
	v_fma_f64 v[70:71], v[74:75], v[108:109], v[0:1]
	v_mul_f64 v[0:1], v[74:75], v[110:111]
	v_add_f64 v[172:173], v[82:83], -v[70:71]
	s_delay_alu instid0(VALU_DEP_2) | instskip(SKIP_3) | instid1(VALU_DEP_4)
	v_fma_f64 v[72:73], v[72:73], v[108:109], -v[0:1]
	s_waitcnt vmcnt(0)
	v_mul_f64 v[0:1], v[58:59], v[118:119]
	v_add_f64 v[181:182], v[82:83], v[70:71]
	v_mul_f64 v[205:206], v[172:173], s[36:37]
	s_delay_alu instid0(VALU_DEP_4) | instskip(NEXT) | instid1(VALU_DEP_4)
	v_add_f64 v[174:175], v[64:65], v[72:73]
	v_fma_f64 v[74:75], v[56:57], v[116:117], -v[0:1]
	v_mul_f64 v[0:1], v[56:57], v[118:119]
	v_add_f64 v[183:184], v[64:65], -v[72:73]
	v_mul_f64 v[221:222], v[172:173], s[26:27]
	s_delay_alu instid0(VALU_DEP_4) | instskip(NEXT) | instid1(VALU_DEP_4)
	v_add_f64 v[185:186], v[66:67], v[74:75]
	v_fma_f64 v[56:57], v[58:59], v[116:117], v[0:1]
	v_fma_f64 v[0:1], v[156:157], s[12:13], v[152:153]
	v_add_f64 v[19:20], v[66:67], -v[74:75]
	v_mul_f64 v[219:220], v[183:184], s[36:37]
	v_mul_f64 v[235:236], v[183:184], s[26:27]
	v_add_f64 v[17:18], v[68:69], -v[56:57]
	v_add_f64 v[0:1], v[52:53], v[0:1]
	v_add_f64 v[189:190], v[68:69], v[56:57]
	v_mul_f64 v[223:224], v[19:20], s[22:23]
	v_mul_f64 v[231:232], v[19:20], s[28:29]
	;; [unrolled: 1-line block ×5, first 2 shown]
	v_add_f64 v[0:1], v[2:3], v[0:1]
	v_fma_f64 v[2:3], v[106:107], s[12:13], -v[104:105]
	v_mul_f64 v[211:212], v[17:18], s[28:29]
	v_mul_f64 v[241:242], v[17:18], s[38:39]
	;; [unrolled: 1-line block ×3, first 2 shown]
	s_delay_alu instid0(VALU_DEP_4) | instskip(NEXT) | instid1(VALU_DEP_1)
	v_add_f64 v[2:3], v[54:55], v[2:3]
	v_add_f64 v[2:3], v[6:7], v[2:3]
	v_mul_f64 v[6:7], v[140:141], s[34:35]
	scratch_store_b64 off, v[6:7], off offset:252 ; 8-byte Folded Spill
	v_fma_f64 v[6:7], v[158:159], s[14:15], v[6:7]
	s_clause 0x3
	scratch_store_b64 off, v[21:22], off offset:180
	scratch_store_b64 off, v[95:96], off offset:196
	;; [unrolled: 1-line block ×4, first 2 shown]
	v_mul_f64 v[84:85], v[4:5], s[24:25]
	v_mov_b32_e32 v21, v92
	v_mul_f64 v[94:95], v[172:173], s[22:23]
	scratch_store_b64 off, v[97:98], off offset:220 ; 8-byte Folded Spill
	v_mul_f64 v[96:97], v[86:87], s[36:37]
	v_add_f64 v[0:1], v[6:7], v[0:1]
	v_mul_f64 v[6:7], v[142:143], s[34:35]
	s_delay_alu instid0(VALU_DEP_3) | instskip(SKIP_2) | instid1(VALU_DEP_1)
	v_fma_f64 v[58:59], v[154:155], s[14:15], -v[96:97]
	scratch_store_b64 off, v[6:7], off offset:260 ; 8-byte Folded Spill
	v_fma_f64 v[6:7], v[162:163], s[14:15], -v[6:7]
	v_add_f64 v[2:3], v[6:7], v[2:3]
	v_mul_f64 v[6:7], v[144:145], s[24:25]
	scratch_store_b64 off, v[6:7], off offset:268 ; 8-byte Folded Spill
	v_fma_f64 v[6:7], v[166:167], s[16:17], v[6:7]
	s_clause 0x1
	scratch_store_b64 off, v[76:77], off offset:212
	scratch_store_b64 off, v[99:100], off offset:228
	v_mul_f64 v[98:99], v[142:143], s[26:27]
	v_add_f64 v[0:1], v[6:7], v[0:1]
	v_mul_f64 v[6:7], v[164:165], s[24:25]
	scratch_store_b64 off, v[6:7], off offset:276 ; 8-byte Folded Spill
	v_fma_f64 v[6:7], v[170:171], s[16:17], -v[6:7]
	s_delay_alu instid0(VALU_DEP_1) | instskip(SKIP_3) | instid1(VALU_DEP_1)
	v_add_f64 v[2:3], v[6:7], v[2:3]
	v_mul_f64 v[6:7], v[172:173], s[28:29]
	scratch_store_b64 off, v[6:7], off offset:284 ; 8-byte Folded Spill
	v_fma_f64 v[6:7], v[174:175], s[18:19], v[6:7]
	v_add_f64 v[0:1], v[6:7], v[0:1]
	v_mul_f64 v[6:7], v[183:184], s[28:29]
	scratch_store_b64 off, v[6:7], off offset:292 ; 8-byte Folded Spill
	v_fma_f64 v[6:7], v[181:182], s[18:19], -v[6:7]
	s_delay_alu instid0(VALU_DEP_1) | instskip(SKIP_3) | instid1(VALU_DEP_1)
	v_add_f64 v[2:3], v[6:7], v[2:3]
	v_mul_f64 v[6:7], v[17:18], s[30:31]
	scratch_store_b64 off, v[6:7], off offset:300 ; 8-byte Folded Spill
	v_fma_f64 v[6:7], v[185:186], s[20:21], v[6:7]
	v_add_f64 v[120:121], v[6:7], v[0:1]
	v_mul_f64 v[0:1], v[19:20], s[30:31]
	v_fma_f64 v[6:7], v[154:155], s[16:17], -v[195:196]
	scratch_store_b64 off, v[0:1], off offset:308 ; 8-byte Folded Spill
	v_fma_f64 v[0:1], v[189:190], s[20:21], -v[0:1]
	s_waitcnt_vscnt null, 0x0
	s_barrier
	buffer_gl0_inv
	scratch_store_b32 off, v21, off offset:8 ; 4-byte Folded Spill
	v_lshrrev_b32_e32 v21, 1, v21
	v_add_f64 v[122:123], v[0:1], v[2:3]
	v_fma_f64 v[0:1], v[156:157], s[10:11], v[160:161]
	v_fma_f64 v[2:3], v[150:151], s[16:17], v[191:192]
	s_delay_alu instid0(VALU_DEP_2) | instskip(NEXT) | instid1(VALU_DEP_1)
	v_add_f64 v[0:1], v[52:53], v[0:1]
	v_add_f64 v[0:1], v[2:3], v[0:1]
	v_fma_f64 v[2:3], v[106:107], s[10:11], -v[168:169]
	s_delay_alu instid0(VALU_DEP_1) | instskip(NEXT) | instid1(VALU_DEP_1)
	v_add_f64 v[2:3], v[54:55], v[2:3]
	v_add_f64 v[2:3], v[6:7], v[2:3]
	v_fma_f64 v[6:7], v[158:159], s[20:21], v[193:194]
	s_delay_alu instid0(VALU_DEP_1) | instskip(SKIP_1) | instid1(VALU_DEP_1)
	v_add_f64 v[0:1], v[6:7], v[0:1]
	v_fma_f64 v[6:7], v[162:163], s[20:21], -v[201:202]
	v_add_f64 v[2:3], v[6:7], v[2:3]
	v_fma_f64 v[6:7], v[166:167], s[18:19], v[199:200]
	s_delay_alu instid0(VALU_DEP_1) | instskip(SKIP_1) | instid1(VALU_DEP_1)
	v_add_f64 v[0:1], v[6:7], v[0:1]
	v_fma_f64 v[6:7], v[170:171], s[18:19], -v[207:208]
	v_add_f64 v[2:3], v[6:7], v[2:3]
	v_fma_f64 v[6:7], v[174:175], s[14:15], v[205:206]
	s_delay_alu instid0(VALU_DEP_1) | instskip(SKIP_1) | instid1(VALU_DEP_1)
	v_add_f64 v[0:1], v[6:7], v[0:1]
	v_fma_f64 v[6:7], v[181:182], s[14:15], -v[219:220]
	v_add_f64 v[2:3], v[6:7], v[2:3]
	v_fma_f64 v[6:7], v[185:186], s[12:13], v[203:204]
	s_delay_alu instid0(VALU_DEP_1) | instskip(SKIP_2) | instid1(VALU_DEP_2)
	v_add_f64 v[124:125], v[6:7], v[0:1]
	v_fma_f64 v[0:1], v[189:190], s[12:13], -v[223:224]
	v_fma_f64 v[6:7], v[150:151], s[20:21], v[197:198]
	v_add_f64 v[126:127], v[0:1], v[2:3]
	v_mul_f64 v[0:1], v[4:5], s[34:35]
	s_delay_alu instid0(VALU_DEP_1) | instskip(NEXT) | instid1(VALU_DEP_1)
	v_fma_f64 v[2:3], v[156:157], s[14:15], v[0:1]
	v_add_f64 v[2:3], v[52:53], v[2:3]
	s_delay_alu instid0(VALU_DEP_1) | instskip(SKIP_3) | instid1(SALU_CYCLE_1)
	v_add_f64 v[6:7], v[6:7], v[2:3]
	v_mul_f64 v[2:3], v[78:79], s[34:35]
	s_mov_b32 s35, 0x3fcea1e5
	s_mov_b32 s34, s30
	v_mul_f64 v[239:240], v[172:173], s[34:35]
	v_mul_f64 v[251:252], v[183:184], s[34:35]
	;; [unrolled: 1-line block ×6, first 2 shown]
	v_fma_f64 v[8:9], v[106:107], s[14:15], -v[2:3]
	s_delay_alu instid0(VALU_DEP_2) | instskip(NEXT) | instid1(VALU_DEP_2)
	v_fma_f64 v[17:18], v[185:186], s[14:15], v[164:165]
	v_add_f64 v[8:9], v[54:55], v[8:9]
	s_delay_alu instid0(VALU_DEP_1) | instskip(SKIP_1) | instid1(VALU_DEP_1)
	v_add_f64 v[8:9], v[10:11], v[8:9]
	v_fma_f64 v[10:11], v[158:159], s[16:17], v[209:210]
	v_add_f64 v[6:7], v[10:11], v[6:7]
	v_fma_f64 v[10:11], v[162:163], s[16:17], -v[225:226]
	s_delay_alu instid0(VALU_DEP_1) | instskip(SKIP_1) | instid1(VALU_DEP_1)
	v_add_f64 v[8:9], v[10:11], v[8:9]
	v_fma_f64 v[10:11], v[166:167], s[12:13], v[217:218]
	v_add_f64 v[6:7], v[10:11], v[6:7]
	v_fma_f64 v[10:11], v[170:171], s[12:13], -v[229:230]
	;; [unrolled: 5-line block ×4, first 2 shown]
	s_delay_alu instid0(VALU_DEP_1) | instskip(SKIP_2) | instid1(VALU_DEP_2)
	v_add_f64 v[130:131], v[6:7], v[8:9]
	v_fma_f64 v[6:7], v[156:157], s[16:17], v[84:85]
	v_fma_f64 v[8:9], v[150:151], s[18:19], v[215:216]
	v_add_f64 v[6:7], v[52:53], v[6:7]
	s_delay_alu instid0(VALU_DEP_1) | instskip(SKIP_1) | instid1(VALU_DEP_1)
	v_add_f64 v[8:9], v[8:9], v[6:7]
	v_mul_f64 v[6:7], v[78:79], s[24:25]
	v_fma_f64 v[10:11], v[106:107], s[16:17], -v[6:7]
	s_delay_alu instid0(VALU_DEP_1) | instskip(NEXT) | instid1(VALU_DEP_1)
	v_add_f64 v[10:11], v[54:55], v[10:11]
	v_add_f64 v[10:11], v[12:13], v[10:11]
	v_fma_f64 v[12:13], v[158:159], s[12:13], v[227:228]
	s_delay_alu instid0(VALU_DEP_1) | instskip(SKIP_1) | instid1(VALU_DEP_1)
	v_add_f64 v[8:9], v[12:13], v[8:9]
	v_fma_f64 v[12:13], v[162:163], s[12:13], -v[243:244]
	v_add_f64 v[10:11], v[12:13], v[10:11]
	v_fma_f64 v[12:13], v[166:167], s[14:15], v[233:234]
	s_delay_alu instid0(VALU_DEP_1) | instskip(SKIP_1) | instid1(VALU_DEP_1)
	v_add_f64 v[8:9], v[12:13], v[8:9]
	v_fma_f64 v[12:13], v[170:171], s[14:15], -v[247:248]
	;; [unrolled: 5-line block ×3, first 2 shown]
	v_add_f64 v[10:11], v[12:13], v[10:11]
	v_fma_f64 v[12:13], v[185:186], s[10:11], v[241:242]
	s_delay_alu instid0(VALU_DEP_1) | instskip(SKIP_2) | instid1(VALU_DEP_2)
	v_add_f64 v[132:133], v[12:13], v[8:9]
	v_fma_f64 v[8:9], v[189:190], s[10:11], -v[177:178]
	v_fma_f64 v[12:13], v[150:151], s[14:15], v[245:246]
	v_add_f64 v[134:135], v[8:9], v[10:11]
	v_mul_f64 v[8:9], v[4:5], s[28:29]
	s_delay_alu instid0(VALU_DEP_1) | instskip(NEXT) | instid1(VALU_DEP_1)
	v_fma_f64 v[10:11], v[156:157], s[18:19], v[8:9]
	v_add_f64 v[10:11], v[52:53], v[10:11]
	s_delay_alu instid0(VALU_DEP_1) | instskip(SKIP_1) | instid1(VALU_DEP_1)
	v_add_f64 v[12:13], v[12:13], v[10:11]
	v_mul_f64 v[10:11], v[78:79], s[28:29]
	v_fma_f64 v[22:23], v[106:107], s[18:19], -v[10:11]
	s_delay_alu instid0(VALU_DEP_1) | instskip(NEXT) | instid1(VALU_DEP_1)
	v_add_f64 v[22:23], v[54:55], v[22:23]
	v_add_f64 v[22:23], v[58:59], v[22:23]
	v_fma_f64 v[58:59], v[158:159], s[10:11], v[249:250]
	s_delay_alu instid0(VALU_DEP_1) | instskip(SKIP_1) | instid1(VALU_DEP_1)
	v_add_f64 v[12:13], v[58:59], v[12:13]
	v_fma_f64 v[58:59], v[162:163], s[10:11], -v[98:99]
	v_add_f64 v[22:23], v[58:59], v[22:23]
	v_fma_f64 v[58:59], v[166:167], s[20:21], v[92:93]
	s_delay_alu instid0(VALU_DEP_1) | instskip(SKIP_1) | instid1(VALU_DEP_1)
	v_add_f64 v[12:13], v[58:59], v[12:13]
	v_fma_f64 v[58:59], v[170:171], s[20:21], -v[100:101]
	v_add_f64 v[22:23], v[58:59], v[22:23]
	v_fma_f64 v[58:59], v[174:175], s[12:13], v[94:95]
	s_delay_alu instid0(VALU_DEP_1) | instskip(SKIP_2) | instid1(VALU_DEP_2)
	v_add_f64 v[12:13], v[58:59], v[12:13]
	v_mul_f64 v[58:59], v[183:184], s[22:23]
	v_mul_f64 v[183:184], v[183:184], s[24:25]
	v_fma_f64 v[76:77], v[181:182], s[12:13], -v[58:59]
	s_delay_alu instid0(VALU_DEP_1) | instskip(SKIP_1) | instid1(VALU_DEP_1)
	v_add_f64 v[22:23], v[76:77], v[22:23]
	v_fma_f64 v[76:77], v[185:186], s[16:17], v[253:254]
	v_add_f64 v[136:137], v[76:77], v[12:13]
	v_fma_f64 v[12:13], v[189:190], s[16:17], -v[102:103]
	v_mul_f64 v[76:77], v[14:15], s[22:23]
	s_delay_alu instid0(VALU_DEP_2) | instskip(SKIP_1) | instid1(VALU_DEP_3)
	v_add_f64 v[138:139], v[12:13], v[22:23]
	v_mul_f64 v[12:13], v[4:5], s[30:31]
	v_fma_f64 v[14:15], v[150:151], s[12:13], v[76:77]
	s_delay_alu instid0(VALU_DEP_2) | instskip(NEXT) | instid1(VALU_DEP_1)
	v_fma_f64 v[4:5], v[156:157], s[20:21], v[12:13]
	v_add_f64 v[4:5], v[52:53], v[4:5]
	s_delay_alu instid0(VALU_DEP_1) | instskip(SKIP_2) | instid1(VALU_DEP_2)
	v_add_f64 v[22:23], v[14:15], v[4:5]
	v_mul_f64 v[14:15], v[78:79], s[30:31]
	v_mul_f64 v[78:79], v[86:87], s[22:23]
	v_fma_f64 v[4:5], v[106:107], s[20:21], -v[14:15]
	s_delay_alu instid0(VALU_DEP_2) | instskip(NEXT) | instid1(VALU_DEP_2)
	v_fma_f64 v[86:87], v[154:155], s[12:13], -v[78:79]
	v_add_f64 v[4:5], v[54:55], v[4:5]
	s_delay_alu instid0(VALU_DEP_1) | instskip(SKIP_1) | instid1(VALU_DEP_1)
	v_add_f64 v[179:180], v[86:87], v[4:5]
	v_mul_f64 v[4:5], v[140:141], s[28:29]
	v_fma_f64 v[86:87], v[158:159], s[18:19], v[4:5]
	s_delay_alu instid0(VALU_DEP_1) | instskip(SKIP_2) | instid1(VALU_DEP_2)
	v_add_f64 v[22:23], v[86:87], v[22:23]
	v_mul_f64 v[86:87], v[142:143], s[28:29]
	v_fma_f64 v[142:143], v[166:167], s[10:11], v[187:188]
	v_fma_f64 v[140:141], v[162:163], s[18:19], -v[86:87]
	s_delay_alu instid0(VALU_DEP_2) | instskip(SKIP_1) | instid1(VALU_DEP_3)
	v_add_f64 v[22:23], v[142:143], v[22:23]
	v_fma_f64 v[142:143], v[170:171], s[10:11], -v[144:145]
	v_add_f64 v[140:141], v[140:141], v[179:180]
	v_mul_f64 v[179:180], v[172:173], s[24:25]
	v_mul_f64 v[172:173], v[19:20], s[36:37]
	s_delay_alu instid0(VALU_DEP_3) | instskip(NEXT) | instid1(VALU_DEP_3)
	v_add_f64 v[140:141], v[142:143], v[140:141]
	v_fma_f64 v[142:143], v[174:175], s[16:17], v[179:180]
	s_delay_alu instid0(VALU_DEP_1) | instskip(SKIP_1) | instid1(VALU_DEP_1)
	v_add_f64 v[22:23], v[142:143], v[22:23]
	v_fma_f64 v[142:143], v[181:182], s[16:17], -v[183:184]
	v_add_f64 v[142:143], v[142:143], v[140:141]
	s_delay_alu instid0(VALU_DEP_3) | instskip(SKIP_1) | instid1(VALU_DEP_1)
	v_add_f64 v[140:141], v[17:18], v[22:23]
	v_fma_f64 v[17:18], v[189:190], s[14:15], -v[172:173]
	v_add_f64 v[142:143], v[17:18], v[142:143]
	s_and_saveexec_b32 s1, s0
	s_cbranch_execz .LBB0_11
; %bb.10:
	v_mul_f64 v[17:18], v[106:107], s[20:21]
	v_mul_f64 v[19:20], v[106:107], s[14:15]
	v_mul_f64 v[22:23], v[156:157], s[10:11]
	s_delay_alu instid0(VALU_DEP_3) | instskip(SKIP_1) | instid1(VALU_DEP_4)
	v_add_f64 v[14:15], v[14:15], v[17:18]
	v_mul_f64 v[17:18], v[156:157], s[20:21]
	v_add_f64 v[2:3], v[2:3], v[19:20]
	v_mul_f64 v[19:20], v[156:157], s[14:15]
	v_add_f64 v[22:23], v[22:23], -v[160:161]
	v_add_f64 v[14:15], v[54:55], v[14:15]
	v_add_f64 v[12:13], v[17:18], -v[12:13]
	v_mul_f64 v[17:18], v[106:107], s[18:19]
	v_add_f64 v[0:1], v[19:20], -v[0:1]
	v_mul_f64 v[19:20], v[106:107], s[10:11]
	s_delay_alu instid0(VALU_DEP_4) | instskip(NEXT) | instid1(VALU_DEP_4)
	v_add_f64 v[12:13], v[52:53], v[12:13]
	v_add_f64 v[10:11], v[10:11], v[17:18]
	v_mul_f64 v[17:18], v[106:107], s[16:17]
	s_delay_alu instid0(VALU_DEP_4) | instskip(NEXT) | instid1(VALU_DEP_2)
	v_add_f64 v[19:20], v[168:169], v[19:20]
	v_add_f64 v[6:7], v[6:7], v[17:18]
	v_mul_f64 v[17:18], v[156:157], s[16:17]
	s_delay_alu instid0(VALU_DEP_1) | instskip(SKIP_1) | instid1(VALU_DEP_2)
	v_add_f64 v[17:18], v[17:18], -v[84:85]
	v_mul_f64 v[84:85], v[156:157], s[18:19]
	v_add_f64 v[17:18], v[52:53], v[17:18]
	s_delay_alu instid0(VALU_DEP_2)
	v_add_f64 v[8:9], v[84:85], -v[8:9]
	v_mul_f64 v[84:85], v[106:107], s[12:13]
	v_add_f64 v[106:107], v[54:55], v[146:147]
	v_add_f64 v[146:147], v[52:53], v[148:149]
	v_add_f64 v[148:149], v[54:55], v[10:11]
	v_add_f64 v[10:11], v[54:55], v[2:3]
	v_mul_f64 v[2:3], v[150:151], s[12:13]
	v_add_f64 v[84:85], v[104:105], v[84:85]
	v_mul_f64 v[104:105], v[156:157], s[12:13]
	v_add_f64 v[156:157], v[52:53], v[8:9]
	v_mul_f64 v[8:9], v[162:163], s[18:19]
	v_add_f64 v[2:3], v[2:3], -v[76:77]
	v_mul_f64 v[76:77], v[181:182], s[16:17]
	v_add_f64 v[84:85], v[54:55], v[84:85]
	v_add_f64 v[104:105], v[104:105], -v[152:153]
	v_add_f64 v[152:153], v[54:55], v[6:7]
	v_add_f64 v[6:7], v[54:55], v[19:20]
	;; [unrolled: 1-line block ×4, first 2 shown]
	v_mul_f64 v[0:1], v[154:155], s[12:13]
	v_add_f64 v[8:9], v[86:87], v[8:9]
	v_mul_f64 v[54:55], v[166:167], s[10:11]
	v_add_f64 v[2:3], v[2:3], v[12:13]
	;; [unrolled: 2-line block ×3, first 2 shown]
	v_add_f64 v[104:105], v[52:53], v[104:105]
	v_mul_f64 v[52:53], v[158:159], s[18:19]
	v_add_f64 v[0:1], v[78:79], v[0:1]
	v_mul_f64 v[78:79], v[181:182], s[12:13]
	v_add_f64 v[54:55], v[54:55], -v[187:188]
	v_add_f64 v[12:13], v[12:13], -v[179:180]
	v_add_f64 v[4:5], v[52:53], -v[4:5]
	v_mul_f64 v[52:53], v[170:171], s[10:11]
	v_add_f64 v[0:1], v[0:1], v[14:15]
	v_mul_f64 v[14:15], v[158:159], s[20:21]
	v_add_f64 v[58:59], v[58:59], v[78:79]
	;; [unrolled: 2-line block ×3, first 2 shown]
	v_add_f64 v[52:53], v[144:145], v[52:53]
	v_mul_f64 v[4:5], v[189:190], s[14:15]
	v_add_f64 v[0:1], v[8:9], v[0:1]
	v_mul_f64 v[8:9], v[185:186], s[14:15]
	v_add_f64 v[14:15], v[14:15], -v[193:194]
	v_add_f64 v[78:79], v[78:79], -v[94:95]
	v_add_f64 v[2:3], v[54:55], v[2:3]
	v_mul_f64 v[54:55], v[166:167], s[18:19]
	v_add_f64 v[4:5], v[172:173], v[4:5]
	v_add_f64 v[0:1], v[52:53], v[0:1]
	v_add_f64 v[8:9], v[8:9], -v[164:165]
	v_mul_f64 v[52:53], v[170:171], s[18:19]
	v_add_f64 v[12:13], v[12:13], v[2:3]
	v_add_f64 v[54:55], v[54:55], -v[199:200]
	v_add_f64 v[0:1], v[76:77], v[0:1]
	v_mul_f64 v[76:77], v[181:182], s[14:15]
	v_add_f64 v[52:53], v[207:208], v[52:53]
	s_delay_alu instid0(VALU_DEP_3)
	v_add_f64 v[2:3], v[4:5], v[0:1]
	v_add_f64 v[0:1], v[8:9], v[12:13]
	v_mul_f64 v[4:5], v[154:155], s[16:17]
	v_mul_f64 v[8:9], v[150:151], s[16:17]
	;; [unrolled: 1-line block ×3, first 2 shown]
	v_add_f64 v[76:77], v[219:220], v[76:77]
	s_delay_alu instid0(VALU_DEP_4) | instskip(NEXT) | instid1(VALU_DEP_4)
	v_add_f64 v[4:5], v[195:196], v[4:5]
	v_add_f64 v[8:9], v[8:9], -v[191:192]
	s_delay_alu instid0(VALU_DEP_4) | instskip(NEXT) | instid1(VALU_DEP_3)
	v_add_f64 v[12:13], v[201:202], v[12:13]
	v_add_f64 v[4:5], v[4:5], v[6:7]
	s_delay_alu instid0(VALU_DEP_3) | instskip(SKIP_2) | instid1(VALU_DEP_4)
	v_add_f64 v[6:7], v[8:9], v[19:20]
	v_mul_f64 v[8:9], v[174:175], s[14:15]
	v_mul_f64 v[19:20], v[158:159], s[16:17]
	v_add_f64 v[4:5], v[12:13], v[4:5]
	s_delay_alu instid0(VALU_DEP_4) | instskip(NEXT) | instid1(VALU_DEP_4)
	v_add_f64 v[6:7], v[14:15], v[6:7]
	v_add_f64 v[8:9], v[8:9], -v[205:206]
	v_mul_f64 v[12:13], v[189:190], s[12:13]
	v_mul_f64 v[14:15], v[185:186], s[12:13]
	v_add_f64 v[19:20], v[19:20], -v[209:210]
	v_add_f64 v[4:5], v[52:53], v[4:5]
	v_add_f64 v[6:7], v[54:55], v[6:7]
	v_mul_f64 v[52:53], v[170:171], s[12:13]
	v_add_f64 v[12:13], v[223:224], v[12:13]
	v_add_f64 v[14:15], v[14:15], -v[203:204]
	v_mul_f64 v[54:55], v[166:167], s[12:13]
	v_add_f64 v[4:5], v[76:77], v[4:5]
	v_add_f64 v[8:9], v[8:9], v[6:7]
	;; [unrolled: 1-line block ×3, first 2 shown]
	v_mul_f64 v[76:77], v[181:182], s[10:11]
	v_add_f64 v[54:55], v[54:55], -v[217:218]
	v_add_f64 v[6:7], v[12:13], v[4:5]
	v_add_f64 v[4:5], v[14:15], v[8:9]
	v_mul_f64 v[8:9], v[154:155], s[20:21]
	v_mul_f64 v[12:13], v[150:151], s[20:21]
	v_mul_f64 v[14:15], v[162:163], s[16:17]
	v_add_f64 v[76:77], v[235:236], v[76:77]
	s_delay_alu instid0(VALU_DEP_4) | instskip(NEXT) | instid1(VALU_DEP_4)
	v_add_f64 v[8:9], v[213:214], v[8:9]
	v_add_f64 v[12:13], v[12:13], -v[197:198]
	s_delay_alu instid0(VALU_DEP_4) | instskip(NEXT) | instid1(VALU_DEP_3)
	v_add_f64 v[14:15], v[225:226], v[14:15]
	v_add_f64 v[8:9], v[8:9], v[10:11]
	s_delay_alu instid0(VALU_DEP_3) | instskip(SKIP_2) | instid1(VALU_DEP_4)
	v_add_f64 v[10:11], v[12:13], v[22:23]
	v_mul_f64 v[12:13], v[174:175], s[10:11]
	v_mul_f64 v[22:23], v[158:159], s[12:13]
	v_add_f64 v[8:9], v[14:15], v[8:9]
	s_delay_alu instid0(VALU_DEP_4) | instskip(NEXT) | instid1(VALU_DEP_4)
	v_add_f64 v[10:11], v[19:20], v[10:11]
	v_add_f64 v[12:13], v[12:13], -v[221:222]
	v_mul_f64 v[14:15], v[189:190], s[18:19]
	v_mul_f64 v[19:20], v[185:186], s[18:19]
	v_add_f64 v[22:23], v[22:23], -v[227:228]
	v_add_f64 v[8:9], v[52:53], v[8:9]
	v_add_f64 v[10:11], v[54:55], v[10:11]
	v_mul_f64 v[52:53], v[170:171], s[14:15]
	v_add_f64 v[14:15], v[231:232], v[14:15]
	v_add_f64 v[19:20], v[19:20], -v[211:212]
	v_mul_f64 v[54:55], v[166:167], s[14:15]
	v_add_f64 v[8:9], v[76:77], v[8:9]
	v_add_f64 v[12:13], v[12:13], v[10:11]
	;; [unrolled: 1-line block ×3, first 2 shown]
	v_mul_f64 v[76:77], v[181:182], s[20:21]
	v_add_f64 v[54:55], v[54:55], -v[233:234]
	v_add_f64 v[10:11], v[14:15], v[8:9]
	v_add_f64 v[8:9], v[19:20], v[12:13]
	v_mul_f64 v[12:13], v[154:155], s[18:19]
	v_mul_f64 v[14:15], v[150:151], s[18:19]
	;; [unrolled: 1-line block ×3, first 2 shown]
	v_add_f64 v[76:77], v[251:252], v[76:77]
	s_delay_alu instid0(VALU_DEP_4) | instskip(NEXT) | instid1(VALU_DEP_4)
	v_add_f64 v[12:13], v[237:238], v[12:13]
	v_add_f64 v[14:15], v[14:15], -v[215:216]
	s_delay_alu instid0(VALU_DEP_4) | instskip(NEXT) | instid1(VALU_DEP_3)
	v_add_f64 v[19:20], v[243:244], v[19:20]
	v_add_f64 v[12:13], v[12:13], v[152:153]
	s_delay_alu instid0(VALU_DEP_3) | instskip(SKIP_1) | instid1(VALU_DEP_3)
	v_add_f64 v[14:15], v[14:15], v[17:18]
	v_mul_f64 v[17:18], v[174:175], s[20:21]
	v_add_f64 v[12:13], v[19:20], v[12:13]
	s_delay_alu instid0(VALU_DEP_3) | instskip(SKIP_1) | instid1(VALU_DEP_4)
	v_add_f64 v[14:15], v[22:23], v[14:15]
	v_mul_f64 v[19:20], v[189:190], s[10:11]
	v_add_f64 v[17:18], v[17:18], -v[239:240]
	v_mul_f64 v[22:23], v[185:186], s[10:11]
	v_add_f64 v[12:13], v[52:53], v[12:13]
	v_add_f64 v[14:15], v[54:55], v[14:15]
	;; [unrolled: 1-line block ×3, first 2 shown]
	v_mul_f64 v[52:53], v[158:159], s[10:11]
	v_add_f64 v[22:23], v[22:23], -v[241:242]
	v_mul_f64 v[54:55], v[170:171], s[20:21]
	v_add_f64 v[12:13], v[76:77], v[12:13]
	v_add_f64 v[17:18], v[17:18], v[14:15]
	v_mul_f64 v[76:77], v[166:167], s[20:21]
	v_add_f64 v[52:53], v[52:53], -v[249:250]
	v_add_f64 v[54:55], v[100:101], v[54:55]
	v_add_f64 v[14:15], v[19:20], v[12:13]
	v_mul_f64 v[19:20], v[150:151], s[14:15]
	v_add_f64 v[12:13], v[22:23], v[17:18]
	v_mul_f64 v[17:18], v[154:155], s[14:15]
	v_mul_f64 v[22:23], v[162:163], s[10:11]
	v_add_f64 v[76:77], v[76:77], -v[92:93]
	scratch_load_b64 v[92:93], off, off offset:292 ; 8-byte Folded Reload
	v_add_f64 v[19:20], v[19:20], -v[245:246]
	v_add_f64 v[17:18], v[96:97], v[17:18]
	v_add_f64 v[22:23], v[98:99], v[22:23]
	s_delay_alu instid0(VALU_DEP_3) | instskip(NEXT) | instid1(VALU_DEP_3)
	v_add_f64 v[19:20], v[19:20], v[156:157]
	v_add_f64 v[17:18], v[17:18], v[148:149]
	s_delay_alu instid0(VALU_DEP_2) | instskip(SKIP_1) | instid1(VALU_DEP_3)
	v_add_f64 v[19:20], v[52:53], v[19:20]
	v_mul_f64 v[52:53], v[185:186], s[16:17]
	v_add_f64 v[17:18], v[22:23], v[17:18]
	v_mul_f64 v[22:23], v[189:190], s[16:17]
	s_delay_alu instid0(VALU_DEP_4) | instskip(NEXT) | instid1(VALU_DEP_4)
	v_add_f64 v[19:20], v[76:77], v[19:20]
	v_add_f64 v[52:53], v[52:53], -v[253:254]
	s_delay_alu instid0(VALU_DEP_4) | instskip(NEXT) | instid1(VALU_DEP_4)
	v_add_f64 v[17:18], v[54:55], v[17:18]
	v_add_f64 v[22:23], v[102:103], v[22:23]
	scratch_load_b64 v[76:77], off, off offset:252 ; 8-byte Folded Reload
	v_add_f64 v[19:20], v[78:79], v[19:20]
	scratch_load_b64 v[78:79], off, off offset:276 ; 8-byte Folded Reload
	;; [unrolled: 2-line block ×5, first 2 shown]
	v_mul_f64 v[17:18], v[154:155], s[10:11]
	s_waitcnt vmcnt(1)
	s_delay_alu instid0(VALU_DEP_1) | instskip(SKIP_1) | instid1(VALU_DEP_2)
	v_add_f64 v[17:18], v[19:20], v[17:18]
	v_mul_f64 v[19:20], v[150:151], s[10:11]
	v_add_f64 v[17:18], v[17:18], v[84:85]
	s_waitcnt vmcnt(0)
	s_delay_alu instid0(VALU_DEP_2) | instskip(SKIP_2) | instid1(VALU_DEP_3)
	v_add_f64 v[19:20], v[19:20], -v[22:23]
	v_mul_f64 v[22:23], v[162:163], s[14:15]
	v_mul_f64 v[84:85], v[174:175], s[18:19]
	v_add_f64 v[19:20], v[19:20], v[104:105]
	s_delay_alu instid0(VALU_DEP_3) | instskip(SKIP_1) | instid1(VALU_DEP_2)
	v_add_f64 v[22:23], v[58:59], v[22:23]
	v_mul_f64 v[58:59], v[158:159], s[14:15]
	v_add_f64 v[17:18], v[22:23], v[17:18]
	s_delay_alu instid0(VALU_DEP_2) | instskip(SKIP_2) | instid1(VALU_DEP_3)
	v_add_f64 v[58:59], v[58:59], -v[76:77]
	v_mul_f64 v[76:77], v[170:171], s[16:17]
	v_mul_f64 v[22:23], v[189:190], s[20:21]
	v_add_f64 v[19:20], v[58:59], v[19:20]
	s_clause 0x1
	scratch_load_b64 v[58:59], off, off offset:308
	scratch_load_b64 v[86:87], off, off offset:268
	v_add_f64 v[76:77], v[78:79], v[76:77]
	v_mul_f64 v[78:79], v[166:167], s[16:17]
	s_delay_alu instid0(VALU_DEP_2)
	v_add_f64 v[17:18], v[76:77], v[17:18]
	scratch_load_b64 v[76:77], off, off offset:300 ; 8-byte Folded Reload
	s_waitcnt vmcnt(2)
	v_add_f64 v[22:23], v[58:59], v[22:23]
	s_waitcnt vmcnt(1)
	v_add_f64 v[78:79], v[78:79], -v[86:87]
	v_mul_f64 v[86:87], v[181:182], s[18:19]
	v_mul_f64 v[58:59], v[185:186], s[20:21]
	s_delay_alu instid0(VALU_DEP_3) | instskip(NEXT) | instid1(VALU_DEP_3)
	v_add_f64 v[19:20], v[78:79], v[19:20]
	v_add_f64 v[86:87], v[92:93], v[86:87]
	scratch_load_b64 v[92:93], off, off offset:284 ; 8-byte Folded Reload
	s_waitcnt vmcnt(1)
	v_add_f64 v[58:59], v[58:59], -v[76:77]
	v_add_f64 v[17:18], v[86:87], v[17:18]
	s_delay_alu instid0(VALU_DEP_1)
	v_add_f64 v[78:79], v[22:23], v[17:18]
	s_clause 0x1
	scratch_load_b64 v[22:23], off, off offset:188
	scratch_load_b64 v[17:18], off, off offset:172
	s_waitcnt vmcnt(2)
	v_add_f64 v[84:85], v[84:85], -v[92:93]
	s_delay_alu instid0(VALU_DEP_1) | instskip(NEXT) | instid1(VALU_DEP_1)
	v_add_f64 v[19:20], v[84:85], v[19:20]
	v_add_f64 v[76:77], v[58:59], v[19:20]
	scratch_load_b64 v[19:20], off, off offset:164 ; 8-byte Folded Reload
	s_waitcnt vmcnt(1)
	v_add_f64 v[17:18], v[106:107], v[17:18]
	s_delay_alu instid0(VALU_DEP_1) | instskip(SKIP_4) | instid1(VALU_DEP_1)
	v_add_f64 v[17:18], v[17:18], v[22:23]
	scratch_load_b64 v[22:23], off, off offset:180 ; 8-byte Folded Reload
	s_waitcnt vmcnt(1)
	v_add_f64 v[19:20], v[146:147], v[19:20]
	s_waitcnt vmcnt(0)
	v_add_f64 v[19:20], v[19:20], v[22:23]
	scratch_load_b64 v[22:23], off, off offset:228 ; 8-byte Folded Reload
	s_waitcnt vmcnt(0)
	v_add_f64 v[17:18], v[17:18], v[22:23]
	scratch_load_b64 v[22:23], off, off offset:220 ; 8-byte Folded Reload
	v_add_f64 v[17:18], v[17:18], v[82:83]
	s_delay_alu instid0(VALU_DEP_1) | instskip(NEXT) | instid1(VALU_DEP_1)
	v_add_f64 v[17:18], v[17:18], v[68:69]
	v_add_f64 v[17:18], v[17:18], v[56:57]
	s_delay_alu instid0(VALU_DEP_1) | instskip(SKIP_4) | instid1(VALU_DEP_1)
	v_add_f64 v[17:18], v[17:18], v[70:71]
	s_waitcnt vmcnt(0)
	v_add_f64 v[19:20], v[19:20], v[22:23]
	scratch_load_b64 v[22:23], off, off offset:212 ; 8-byte Folded Reload
	v_add_f64 v[19:20], v[19:20], v[64:65]
	v_add_f64 v[19:20], v[19:20], v[66:67]
	s_delay_alu instid0(VALU_DEP_1) | instskip(NEXT) | instid1(VALU_DEP_1)
	v_add_f64 v[19:20], v[19:20], v[74:75]
	v_add_f64 v[19:20], v[19:20], v[72:73]
	s_delay_alu instid0(VALU_DEP_1)
	v_add_f64 v[19:20], v[19:20], v[80:81]
	s_waitcnt vmcnt(0)
	v_add_f64 v[17:18], v[17:18], v[22:23]
	scratch_load_b64 v[22:23], off, off offset:204 ; 8-byte Folded Reload
	s_waitcnt vmcnt(0)
	v_add_f64 v[17:18], v[17:18], v[22:23]
	scratch_load_b64 v[22:23], off, off offset:196 ; 8-byte Folded Reload
	;; [unrolled: 3-line block ×6, first 2 shown]
	s_waitcnt vmcnt(0)
	v_add_f64 v[56:57], v[19:20], v[17:18]
	scratch_load_b32 v18, off, off offset:116 ; 4-byte Folded Reload
	v_mul_u32_u24_e32 v17, 26, v21
	s_waitcnt vmcnt(0)
	s_delay_alu instid0(VALU_DEP_1) | instskip(NEXT) | instid1(VALU_DEP_1)
	v_or_b32_e32 v17, v17, v18
	v_lshlrev_b32_e32 v17, 4, v17
	ds_store_b128 v17, v[4:7] offset:64
	ds_store_b128 v17, v[8:11] offset:96
	;; [unrolled: 1-line block ×11, first 2 shown]
	ds_store_b128 v17, v[56:59]
	ds_store_b128 v17, v[120:123] offset:384
.LBB0_11:
	s_or_b32 exec_lo, exec_lo, s1
	scratch_load_b32 v178, off, off offset:8 ; 4-byte Folded Reload
	s_waitcnt vmcnt(0) lgkmcnt(0)
	s_waitcnt_vscnt null, 0x0
	s_barrier
	buffer_gl0_inv
	s_mov_b32 s12, 0x37e14327
	s_mov_b32 s14, 0xe976ee23
	;; [unrolled: 1-line block ×20, first 2 shown]
	v_and_b32_e32 v0, 0xff, v178
	s_delay_alu instid0(VALU_DEP_1) | instskip(NEXT) | instid1(VALU_DEP_1)
	v_mul_lo_u16 v0, 0x4f, v0
	v_lshrrev_b16 v150, 11, v0
	s_delay_alu instid0(VALU_DEP_1) | instskip(NEXT) | instid1(VALU_DEP_1)
	v_mul_lo_u16 v0, v150, 26
	v_sub_nc_u16 v0, v178, v0
	s_delay_alu instid0(VALU_DEP_1) | instskip(NEXT) | instid1(VALU_DEP_1)
	v_and_b32_e32 v151, 0xff, v0
	v_mad_u64_u32 v[0:1], null, 0x60, v151, s[2:3]
	s_clause 0x5
	global_load_b128 v[56:59], v[0:1], off offset:384
	global_load_b128 v[52:55], v[0:1], off offset:400
	;; [unrolled: 1-line block ×6, first 2 shown]
	ds_load_b128 v[0:3], v255 offset:2912
	ds_load_b128 v[4:7], v255 offset:5824
	ds_load_b128 v[8:11], v255 offset:17472
	ds_load_b128 v[12:15], v255 offset:14560
	ds_load_b128 v[80:83], v255 offset:8736
	ds_load_b128 v[84:87], v255 offset:11648
	s_waitcnt vmcnt(5) lgkmcnt(5)
	v_mul_f64 v[17:18], v[2:3], v[58:59]
	v_mul_f64 v[19:20], v[0:1], v[58:59]
	s_waitcnt vmcnt(4) lgkmcnt(4)
	v_mul_f64 v[22:23], v[6:7], v[54:55]
	v_mul_f64 v[92:93], v[4:5], v[54:55]
	;; [unrolled: 3-line block ×6, first 2 shown]
	v_fma_f64 v[0:1], v[0:1], v[56:57], -v[17:18]
	v_fma_f64 v[2:3], v[2:3], v[56:57], v[19:20]
	v_fma_f64 v[4:5], v[4:5], v[52:53], -v[22:23]
	v_fma_f64 v[6:7], v[6:7], v[52:53], v[92:93]
	;; [unrolled: 2-line block ×6, first 2 shown]
	v_add_f64 v[82:83], v[0:1], v[8:9]
	v_add_f64 v[84:85], v[2:3], v[10:11]
	;; [unrolled: 1-line block ×4, first 2 shown]
	v_add_f64 v[4:5], v[4:5], -v[12:13]
	v_add_f64 v[6:7], v[6:7], -v[14:15]
	v_add_f64 v[12:13], v[17:18], v[22:23]
	v_add_f64 v[14:15], v[19:20], v[80:81]
	v_add_f64 v[17:18], v[22:23], -v[17:18]
	v_add_f64 v[19:20], v[80:81], -v[19:20]
	;; [unrolled: 1-line block ×4, first 2 shown]
	v_add_f64 v[0:1], v[86:87], v[82:83]
	v_add_f64 v[2:3], v[92:93], v[84:85]
	v_add_f64 v[22:23], v[82:83], -v[12:13]
	v_add_f64 v[80:81], v[84:85], -v[14:15]
	;; [unrolled: 1-line block ×6, first 2 shown]
	v_add_f64 v[106:107], v[17:18], v[4:5]
	v_add_f64 v[144:145], v[19:20], v[6:7]
	v_add_f64 v[17:18], v[8:9], -v[17:18]
	v_add_f64 v[19:20], v[10:11], -v[19:20]
	v_add_f64 v[102:103], v[12:13], v[0:1]
	v_add_f64 v[104:105], v[14:15], v[2:3]
	v_add_f64 v[12:13], v[12:13], -v[86:87]
	v_add_f64 v[14:15], v[14:15], -v[92:93]
	ds_load_b128 v[0:3], v255
	v_mul_f64 v[22:23], v[22:23], s[12:13]
	v_mul_f64 v[80:81], v[80:81], s[12:13]
	;; [unrolled: 1-line block ×6, first 2 shown]
	v_add_f64 v[8:9], v[106:107], v[8:9]
	v_add_f64 v[10:11], v[144:145], v[10:11]
	s_waitcnt lgkmcnt(0)
	s_barrier
	buffer_gl0_inv
	v_add_f64 v[4:5], v[0:1], v[102:103]
	v_add_f64 v[6:7], v[2:3], v[104:105]
	v_add_f64 v[0:1], v[86:87], -v[82:83]
	v_add_f64 v[2:3], v[92:93], -v[84:85]
	v_mul_f64 v[82:83], v[12:13], s[16:17]
	v_mul_f64 v[84:85], v[14:15], s[16:17]
	v_fma_f64 v[12:13], v[12:13], s[16:17], v[22:23]
	v_fma_f64 v[14:15], v[14:15], s[16:17], v[80:81]
	;; [unrolled: 1-line block ×4, first 2 shown]
	v_fma_f64 v[94:95], v[98:99], s[10:11], -v[94:95]
	v_fma_f64 v[96:97], v[100:101], s[10:11], -v[96:97]
	;; [unrolled: 1-line block ×4, first 2 shown]
	v_fma_f64 v[98:99], v[102:103], s[18:19], v[4:5]
	v_fma_f64 v[100:101], v[104:105], s[18:19], v[6:7]
	v_fma_f64 v[22:23], v[0:1], s[22:23], -v[22:23]
	v_fma_f64 v[80:81], v[2:3], s[22:23], -v[80:81]
	;; [unrolled: 1-line block ×4, first 2 shown]
	v_fma_f64 v[102:103], v[8:9], s[28:29], v[86:87]
	v_fma_f64 v[104:105], v[10:11], s[28:29], v[92:93]
	v_fma_f64 v[86:87], v[8:9], s[28:29], v[94:95]
	v_fma_f64 v[84:85], v[10:11], s[28:29], v[96:97]
	v_fma_f64 v[17:18], v[8:9], s[28:29], v[17:18]
	v_fma_f64 v[19:20], v[10:11], s[28:29], v[19:20]
	v_add_f64 v[96:97], v[12:13], v[98:99]
	v_add_f64 v[106:107], v[14:15], v[100:101]
	;; [unrolled: 1-line block ×7, first 2 shown]
	v_add_f64 v[10:11], v[106:107], -v[102:103]
	v_add_f64 v[12:13], v[19:20], v[22:23]
	v_add_f64 v[14:15], v[94:95], -v[17:18]
	v_add_f64 v[80:81], v[0:1], -v[84:85]
	v_add_f64 v[82:83], v[86:87], v[2:3]
	v_add_f64 v[84:85], v[84:85], v[0:1]
	v_add_f64 v[86:87], v[2:3], -v[86:87]
	v_add_f64 v[92:93], v[22:23], -v[19:20]
	v_add_f64 v[94:95], v[17:18], v[94:95]
	v_add_f64 v[96:97], v[96:97], -v[104:105]
	v_add_f64 v[98:99], v[102:103], v[106:107]
	v_and_b32_e32 v0, 0xffff, v150
	s_delay_alu instid0(VALU_DEP_1) | instskip(NEXT) | instid1(VALU_DEP_1)
	v_mul_u32_u24_e32 v0, 0xb6, v0
	v_add_lshl_u32 v2, v0, v151, 4
	v_mad_u64_u32 v[0:1], null, 0x60, v178, s[2:3]
	ds_store_b128 v2, v[4:7]
	ds_store_b128 v2, v[8:11] offset:416
	ds_store_b128 v2, v[12:15] offset:832
	;; [unrolled: 1-line block ×6, first 2 shown]
	s_waitcnt lgkmcnt(0)
	s_barrier
	buffer_gl0_inv
	s_clause 0x5
	global_load_b128 v[84:87], v[0:1], off offset:2880
	global_load_b128 v[80:83], v[0:1], off offset:2896
	;; [unrolled: 1-line block ×6, first 2 shown]
	ds_load_b128 v[3:6], v255 offset:2912
	ds_load_b128 v[7:10], v255 offset:5824
	;; [unrolled: 1-line block ×6, first 2 shown]
	s_waitcnt vmcnt(5) lgkmcnt(5)
	v_mul_f64 v[0:1], v[5:6], v[86:87]
	v_mul_f64 v[17:18], v[3:4], v[86:87]
	s_waitcnt vmcnt(4) lgkmcnt(4)
	v_mul_f64 v[19:20], v[9:10], v[82:83]
	v_mul_f64 v[22:23], v[7:8], v[82:83]
	;; [unrolled: 3-line block ×6, first 2 shown]
	v_fma_f64 v[0:1], v[3:4], v[84:85], -v[0:1]
	v_fma_f64 v[3:4], v[5:6], v[84:85], v[17:18]
	v_fma_f64 v[5:6], v[7:8], v[80:81], -v[19:20]
	v_fma_f64 v[7:8], v[9:10], v[80:81], v[22:23]
	;; [unrolled: 2-line block ×6, first 2 shown]
	v_add_f64 v[148:149], v[0:1], v[9:10]
	v_add_f64 v[150:151], v[3:4], v[11:12]
	;; [unrolled: 1-line block ×4, first 2 shown]
	v_add_f64 v[13:14], v[5:6], -v[13:14]
	v_add_f64 v[7:8], v[7:8], -v[17:18]
	v_add_f64 v[5:6], v[19:20], v[144:145]
	v_add_f64 v[17:18], v[22:23], v[146:147]
	v_add_f64 v[19:20], v[144:145], -v[19:20]
	v_add_f64 v[22:23], v[146:147], -v[22:23]
	;; [unrolled: 1-line block ×4, first 2 shown]
	v_add_f64 v[3:4], v[152:153], v[148:149]
	v_add_f64 v[11:12], v[154:155], v[150:151]
	v_add_f64 v[144:145], v[148:149], -v[5:6]
	v_add_f64 v[146:147], v[150:151], -v[17:18]
	;; [unrolled: 1-line block ×7, first 2 shown]
	v_add_f64 v[13:14], v[19:20], v[13:14]
	v_add_f64 v[7:8], v[22:23], v[7:8]
	v_add_f64 v[19:20], v[0:1], -v[19:20]
	v_add_f64 v[22:23], v[9:10], -v[22:23]
	;; [unrolled: 1-line block ×4, first 2 shown]
	v_add_f64 v[164:165], v[5:6], v[3:4]
	v_add_f64 v[11:12], v[17:18], v[11:12]
	v_add_f64 v[17:18], v[17:18], -v[154:155]
	ds_load_b128 v[3:6], v255
	v_mul_f64 v[144:145], v[144:145], s[12:13]
	v_mul_f64 v[146:147], v[146:147], s[12:13]
	v_mul_f64 v[156:157], v[156:157], s[14:15]
	v_mul_f64 v[158:159], v[158:159], s[14:15]
	v_mul_f64 v[168:169], v[160:161], s[10:11]
	v_mul_f64 v[170:171], v[162:163], s[10:11]
	v_mul_f64 v[152:153], v[166:167], s[16:17]
	v_add_f64 v[0:1], v[13:14], v[0:1]
	v_add_f64 v[7:8], v[7:8], v[9:10]
	s_waitcnt lgkmcnt(0)
	v_add_f64 v[3:4], v[3:4], v[164:165]
	v_add_f64 v[5:6], v[5:6], v[11:12]
	v_mul_f64 v[154:155], v[17:18], s[16:17]
	v_fma_f64 v[9:10], v[166:167], s[16:17], v[144:145]
	v_fma_f64 v[13:14], v[17:18], s[16:17], v[146:147]
	;; [unrolled: 1-line block ×4, first 2 shown]
	v_fma_f64 v[156:157], v[160:161], s[10:11], -v[156:157]
	v_fma_f64 v[19:20], v[19:20], s[26:27], -v[168:169]
	;; [unrolled: 1-line block ×7, first 2 shown]
	v_fma_f64 v[160:161], v[164:165], s[18:19], v[3:4]
	v_fma_f64 v[11:12], v[11:12], s[18:19], v[5:6]
	v_fma_f64 v[150:151], v[150:151], s[20:21], -v[154:155]
	v_fma_f64 v[17:18], v[0:1], s[28:29], v[17:18]
	v_fma_f64 v[162:163], v[7:8], s[28:29], v[166:167]
	;; [unrolled: 1-line block ×6, first 2 shown]
	v_add_f64 v[22:23], v[9:10], v[160:161]
	v_add_f64 v[164:165], v[13:14], v[11:12]
	;; [unrolled: 1-line block ×7, first 2 shown]
	v_add_f64 v[9:10], v[164:165], -v[17:18]
	v_add_f64 v[11:12], v[19:20], v[144:145]
	v_add_f64 v[13:14], v[146:147], -v[0:1]
	v_add_f64 v[148:149], v[156:157], -v[152:153]
	v_add_f64 v[150:151], v[154:155], v[158:159]
	v_add_f64 v[152:153], v[152:153], v[156:157]
	v_add_f64 v[154:155], v[158:159], -v[154:155]
	v_add_f64 v[156:157], v[144:145], -v[19:20]
	v_add_f64 v[158:159], v[0:1], v[146:147]
	v_add_f64 v[144:145], v[22:23], -v[162:163]
	v_add_f64 v[146:147], v[17:18], v[164:165]
	v_add_co_u32 v0, s1, 0x4fa0, v176
	s_delay_alu instid0(VALU_DEP_1) | instskip(SKIP_1) | instid1(VALU_DEP_1)
	v_add_co_ci_u32_e64 v1, s1, 0, v16, s1
	v_add_co_u32 v179, s1, 0x4000, v176
	v_add_co_ci_u32_e64 v180, s1, 0, v16, s1
	v_add_co_u32 v17, s1, 0x7000, v176
	s_delay_alu instid0(VALU_DEP_1) | instskip(SKIP_1) | instid1(VALU_DEP_1)
	v_add_co_ci_u32_e64 v18, s1, 0, v16, s1
	v_add_co_u32 v19, s1, 0x8000, v176
	v_add_co_ci_u32_e64 v20, s1, 0, v16, s1
	v_add_co_u32 v15, s1, 0x6000, v176
	ds_store_b128 v255, v[3:6]
	ds_store_b128 v255, v[7:10] offset:2912
	ds_store_b128 v255, v[11:14] offset:5824
	;; [unrolled: 1-line block ×6, first 2 shown]
	s_waitcnt lgkmcnt(0)
	s_barrier
	buffer_gl0_inv
	s_clause 0x1
	global_load_b128 v[3:6], v[179:180], off offset:4000
	global_load_b128 v[7:10], v[17:18], off offset:1904
	v_add_co_ci_u32_e64 v16, s1, 0, v16, s1
	s_clause 0x3
	global_load_b128 v[11:14], v[0:1], off offset:2912
	global_load_b128 v[148:151], v[19:20], off offset:720
	;; [unrolled: 1-line block ×4, first 2 shown]
	ds_load_b128 v[160:163], v255
	ds_load_b128 v[164:167], v255 offset:10192
	ds_load_b128 v[168:171], v255 offset:2912
	;; [unrolled: 1-line block ×5, first 2 shown]
	s_waitcnt vmcnt(5) lgkmcnt(5)
	v_mul_f64 v[15:16], v[162:163], v[5:6]
	v_mul_f64 v[5:6], v[160:161], v[5:6]
	s_waitcnt vmcnt(4) lgkmcnt(4)
	v_mul_f64 v[17:18], v[166:167], v[9:10]
	v_mul_f64 v[9:10], v[164:165], v[9:10]
	;; [unrolled: 3-line block ×6, first 2 shown]
	v_fma_f64 v[13:14], v[160:161], v[3:4], -v[15:16]
	v_fma_f64 v[15:16], v[162:163], v[3:4], v[5:6]
	v_fma_f64 v[3:4], v[164:165], v[7:8], -v[17:18]
	v_fma_f64 v[5:6], v[166:167], v[7:8], v[9:10]
	;; [unrolled: 2-line block ×6, first 2 shown]
	ds_store_b128 v255, v[13:16]
	ds_store_b128 v255, v[7:10] offset:2912
	ds_store_b128 v255, v[3:6] offset:10192
	;; [unrolled: 1-line block ×5, first 2 shown]
	s_and_saveexec_b32 s2, vcc_lo
	s_cbranch_execz .LBB0_13
; %bb.12:
	v_add_co_u32 v3, s1, 0x2000, v0
	s_delay_alu instid0(VALU_DEP_1) | instskip(SKIP_1) | instid1(VALU_DEP_1)
	v_add_co_ci_u32_e64 v4, s1, 0, v1, s1
	v_add_co_u32 v0, s1, 0x4000, v0
	v_add_co_ci_u32_e64 v1, s1, 0, v1, s1
	s_clause 0x1
	global_load_b128 v[3:6], v[3:4], off offset:544
	global_load_b128 v[7:10], v[0:1], off offset:2544
	ds_load_b128 v[11:14], v255 offset:8736
	ds_load_b128 v[148:151], v255 offset:18928
	s_waitcnt vmcnt(1) lgkmcnt(1)
	v_mul_f64 v[0:1], v[13:14], v[5:6]
	v_mul_f64 v[5:6], v[11:12], v[5:6]
	s_waitcnt vmcnt(0) lgkmcnt(0)
	v_mul_f64 v[15:16], v[150:151], v[9:10]
	v_mul_f64 v[17:18], v[148:149], v[9:10]
	s_delay_alu instid0(VALU_DEP_4) | instskip(NEXT) | instid1(VALU_DEP_4)
	v_fma_f64 v[9:10], v[11:12], v[3:4], -v[0:1]
	v_fma_f64 v[11:12], v[13:14], v[3:4], v[5:6]
	s_delay_alu instid0(VALU_DEP_4) | instskip(NEXT) | instid1(VALU_DEP_4)
	v_fma_f64 v[3:4], v[148:149], v[7:8], -v[15:16]
	v_fma_f64 v[5:6], v[150:151], v[7:8], v[17:18]
	ds_store_b128 v255, v[9:12] offset:8736
	ds_store_b128 v255, v[3:6] offset:18928
.LBB0_13:
	s_or_b32 exec_lo, exec_lo, s2
	s_waitcnt lgkmcnt(0)
	s_barrier
	buffer_gl0_inv
	ds_load_b128 v[156:159], v255
	ds_load_b128 v[160:163], v255 offset:2912
	ds_load_b128 v[148:151], v255 offset:10192
	;; [unrolled: 1-line block ×5, first 2 shown]
	scratch_load_b32 v0, off, off offset:128 ; 4-byte Folded Reload
	s_waitcnt vmcnt(0)
	v_add_nc_u32_e32 v1, 0x16c0, v0
	v_add_nc_u32_e32 v0, 0x2d80, v0
	s_and_saveexec_b32 s1, vcc_lo
	s_cbranch_execz .LBB0_15
; %bb.14:
	ds_load_b128 v[144:147], v255 offset:8736
	ds_load_b128 v[140:143], v255 offset:18928
.LBB0_15:
	s_or_b32 exec_lo, exec_lo, s1
	s_waitcnt lgkmcnt(0)
	s_barrier
	buffer_gl0_inv
	scratch_load_b32 v3, off, off offset:124 ; 4-byte Folded Reload
	v_add_f64 v[148:149], v[156:157], -v[148:149]
	v_add_f64 v[150:151], v[158:159], -v[150:151]
	;; [unrolled: 1-line block ×8, first 2 shown]
	v_fma_f64 v[140:141], v[156:157], 2.0, -v[148:149]
	v_fma_f64 v[142:143], v[158:159], 2.0, -v[150:151]
	;; [unrolled: 1-line block ×8, first 2 shown]
	s_waitcnt vmcnt(0)
	ds_store_b128 v3, v[140:143]
	ds_store_b128 v3, v[148:151] offset:16
	ds_store_b128 v1, v[156:159]
	ds_store_b128 v1, v[152:155] offset:16
	ds_store_b128 v0, v[160:163]
	ds_store_b128 v0, v[164:167] offset:16
	s_and_saveexec_b32 s1, vcc_lo
	s_cbranch_execz .LBB0_17
; %bb.16:
	scratch_load_b32 v0, off, off offset:120 ; 4-byte Folded Reload
	s_waitcnt vmcnt(0)
	ds_store_b128 v0, v[144:147]
	ds_store_b128 v0, v[168:171] offset:16
.LBB0_17:
	s_or_b32 exec_lo, exec_lo, s1
	s_waitcnt lgkmcnt(0)
	s_barrier
	buffer_gl0_inv
	s_and_saveexec_b32 s1, s0
	s_cbranch_execz .LBB0_19
; %bb.18:
	ds_load_b128 v[140:143], v255
	ds_load_b128 v[148:151], v255 offset:1568
	ds_load_b128 v[156:159], v255 offset:3136
	;; [unrolled: 1-line block ×12, first 2 shown]
.LBB0_19:
	s_or_b32 exec_lo, exec_lo, s1
	s_waitcnt lgkmcnt(0)
	s_barrier
	buffer_gl0_inv
	s_and_saveexec_b32 s33, s0
	s_cbranch_execz .LBB0_21
; %bb.20:
	v_mul_f64 v[0:1], v[114:115], v[146:147]
	s_mov_b32 s35, 0x3fddbe06
	s_mov_b32 s34, 0x4267c47c
	;; [unrolled: 1-line block ×16, first 2 shown]
	v_mov_b32_e32 v251, v21
	s_mov_b32 s10, 0xebaa3ed8
	s_mov_b32 s0, 0xb2365da1
	;; [unrolled: 1-line block ×14, first 2 shown]
	s_delay_alu instid0(VALU_DEP_2) | instskip(SKIP_1) | instid1(VALU_DEP_1)
	v_fma_f64 v[172:173], v[112:113], v[144:145], v[0:1]
	v_mul_f64 v[0:1], v[114:115], v[144:145]
	v_fma_f64 v[114:115], v[112:113], v[146:147], -v[0:1]
	v_mul_f64 v[0:1], v[118:119], v[170:171]
	s_delay_alu instid0(VALU_DEP_1) | instskip(SKIP_1) | instid1(VALU_DEP_2)
	v_fma_f64 v[112:113], v[116:117], v[168:169], v[0:1]
	v_mul_f64 v[0:1], v[118:119], v[168:169]
	v_add_f64 v[223:224], v[172:173], v[112:113]
	s_delay_alu instid0(VALU_DEP_2) | instskip(SKIP_1) | instid1(VALU_DEP_2)
	v_fma_f64 v[116:117], v[116:117], v[170:171], -v[0:1]
	v_mul_f64 v[0:1], v[90:91], v[166:167]
	v_add_f64 v[219:220], v[114:115], v[116:117]
	s_delay_alu instid0(VALU_DEP_2) | instskip(SKIP_1) | instid1(VALU_DEP_1)
	v_fma_f64 v[118:119], v[88:89], v[164:165], v[0:1]
	v_mul_f64 v[0:1], v[90:91], v[164:165]
	v_fma_f64 v[88:89], v[88:89], v[166:167], -v[0:1]
	v_mul_f64 v[0:1], v[26:27], v[150:151]
	s_delay_alu instid0(VALU_DEP_1) | instskip(SKIP_1) | instid1(VALU_DEP_2)
	v_fma_f64 v[144:145], v[24:25], v[148:149], v[0:1]
	v_mul_f64 v[0:1], v[26:27], v[148:149]
	v_add_f64 v[195:196], v[140:141], v[144:145]
	s_delay_alu instid0(VALU_DEP_2) | instskip(SKIP_1) | instid1(VALU_DEP_1)
	v_fma_f64 v[146:147], v[24:25], v[150:151], -v[0:1]
	v_mul_f64 v[0:1], v[110:111], v[138:139]
	v_fma_f64 v[24:25], v[108:109], v[136:137], v[0:1]
	v_mul_f64 v[0:1], v[110:111], v[136:137]
	s_delay_alu instid0(VALU_DEP_2) | instskip(NEXT) | instid1(VALU_DEP_2)
	v_add_f64 v[110:111], v[118:119], -v[24:25]
	v_fma_f64 v[26:27], v[108:109], v[138:139], -v[0:1]
	v_mul_f64 v[0:1], v[50:51], v[162:163]
	v_add_f64 v[217:218], v[118:119], v[24:25]
	s_delay_alu instid0(VALU_DEP_4) | instskip(NEXT) | instid1(VALU_DEP_4)
	v_mul_f64 v[15:16], v[110:111], s[34:35]
	v_add_f64 v[215:216], v[88:89], v[26:27]
	s_delay_alu instid0(VALU_DEP_4) | instskip(SKIP_2) | instid1(VALU_DEP_2)
	v_fma_f64 v[90:91], v[48:49], v[160:161], v[0:1]
	v_mul_f64 v[0:1], v[50:51], v[160:161]
	v_mul_f64 v[235:236], v[110:111], s[24:25]
	v_fma_f64 v[108:109], v[48:49], v[162:163], -v[0:1]
	v_mul_f64 v[0:1], v[62:63], v[134:135]
	s_delay_alu instid0(VALU_DEP_1) | instskip(SKIP_1) | instid1(VALU_DEP_2)
	v_fma_f64 v[48:49], v[60:61], v[132:133], v[0:1]
	v_mul_f64 v[0:1], v[62:63], v[132:133]
	v_add_f64 v[213:214], v[90:91], v[48:49]
	s_delay_alu instid0(VALU_DEP_2) | instskip(SKIP_1) | instid1(VALU_DEP_2)
	v_fma_f64 v[50:51], v[60:61], v[134:135], -v[0:1]
	v_mul_f64 v[0:1], v[42:43], v[154:155]
	v_add_f64 v[211:212], v[108:109], v[50:51]
	s_delay_alu instid0(VALU_DEP_2) | instskip(SKIP_1) | instid1(VALU_DEP_1)
	v_fma_f64 v[60:61], v[40:41], v[152:153], v[0:1]
	v_mul_f64 v[0:1], v[42:43], v[152:153]
	v_fma_f64 v[62:63], v[40:41], v[154:155], -v[0:1]
	v_mul_f64 v[0:1], v[46:47], v[130:131]
	s_delay_alu instid0(VALU_DEP_1) | instskip(SKIP_1) | instid1(VALU_DEP_2)
	v_fma_f64 v[40:41], v[44:45], v[128:129], v[0:1]
	v_mul_f64 v[0:1], v[46:47], v[128:129]
	v_add_f64 v[128:129], v[60:61], -v[40:41]
	s_delay_alu instid0(VALU_DEP_2) | instskip(SKIP_2) | instid1(VALU_DEP_4)
	v_fma_f64 v[42:43], v[44:45], v[130:131], -v[0:1]
	v_mul_f64 v[0:1], v[34:35], v[158:159]
	v_add_f64 v[209:210], v[60:61], v[40:41]
	v_mul_f64 v[150:151], v[128:129], s[34:35]
	s_delay_alu instid0(VALU_DEP_4) | instskip(NEXT) | instid1(VALU_DEP_4)
	v_add_f64 v[207:208], v[62:63], v[42:43]
	v_fma_f64 v[44:45], v[32:33], v[156:157], v[0:1]
	v_mul_f64 v[0:1], v[34:35], v[156:157]
	s_delay_alu instid0(VALU_DEP_1) | instskip(SKIP_1) | instid1(VALU_DEP_1)
	v_fma_f64 v[46:47], v[32:33], v[158:159], -v[0:1]
	v_mul_f64 v[0:1], v[38:39], v[126:127]
	v_fma_f64 v[32:33], v[36:37], v[124:125], v[0:1]
	v_mul_f64 v[0:1], v[38:39], v[124:125]
	v_add_f64 v[124:125], v[90:91], -v[48:49]
	v_add_f64 v[38:39], v[172:173], -v[112:113]
	s_delay_alu instid0(VALU_DEP_4) | instskip(NEXT) | instid1(VALU_DEP_4)
	v_add_f64 v[132:133], v[44:45], -v[32:33]
	v_fma_f64 v[36:37], v[36:37], v[126:127], -v[0:1]
	v_mul_f64 v[0:1], v[30:31], v[122:123]
	v_add_f64 v[126:127], v[62:63], -v[42:43]
	v_mul_f64 v[138:139], v[124:125], s[34:35]
	v_mul_f64 v[134:135], v[38:39], s[34:35]
	v_add_f64 v[205:206], v[44:45], v[32:33]
	v_mul_f64 v[221:222], v[38:39], s[24:25]
	v_mul_f64 v[231:232], v[124:125], s[36:37]
	;; [unrolled: 1-line block ×3, first 2 shown]
	v_add_f64 v[44:45], v[195:196], v[44:45]
	v_add_f64 v[130:131], v[46:47], -v[36:37]
	v_fma_f64 v[34:35], v[28:29], v[120:121], v[0:1]
	v_mul_f64 v[0:1], v[30:31], v[120:121]
	v_add_f64 v[30:31], v[88:89], -v[26:27]
	v_add_f64 v[120:121], v[114:115], -v[116:117]
	v_mul_f64 v[152:153], v[126:127], s[34:35]
	v_add_f64 v[203:204], v[46:47], v[36:37]
	v_mul_f64 v[229:230], v[126:127], s[18:19]
	v_add_f64 v[44:45], v[44:45], v[60:61]
	v_mul_f64 v[7:8], v[130:131], s[34:35]
	v_add_f64 v[3:4], v[144:145], -v[34:35]
	v_fma_f64 v[28:29], v[28:29], v[122:123], -v[0:1]
	v_add_f64 v[122:123], v[108:109], -v[50:51]
	v_mul_f64 v[0:1], v[132:133], s[34:35]
	v_mul_f64 v[17:18], v[30:31], s[34:35]
	;; [unrolled: 1-line block ×3, first 2 shown]
	v_add_f64 v[181:182], v[144:145], v[34:35]
	v_mul_f64 v[225:226], v[120:121], s[24:25]
	v_mul_f64 v[227:228], v[130:131], s[20:21]
	;; [unrolled: 1-line block ×4, first 2 shown]
	v_add_f64 v[44:45], v[44:45], v[90:91]
	v_mul_f64 v[5:6], v[3:4], s[18:19]
	v_mul_f64 v[9:10], v[3:4], s[16:17]
	;; [unrolled: 1-line block ×3, first 2 shown]
	s_mov_b32 s35, 0xbfddbe06
	v_mul_f64 v[11:12], v[3:4], s[20:21]
	v_mul_f64 v[13:14], v[3:4], s[28:29]
	;; [unrolled: 1-line block ×4, first 2 shown]
	v_add_f64 v[21:22], v[146:147], v[28:29]
	v_mul_f64 v[233:234], v[122:123], s[36:37]
	v_add_f64 v[44:45], v[44:45], v[118:119]
	s_delay_alu instid0(VALU_DEP_3)
	v_fma_f64 v[154:155], v[21:22], s[14:15], v[5:6]
	v_fma_f64 v[5:6], v[21:22], s[14:15], -v[5:6]
	v_fma_f64 v[156:157], v[21:22], s[2:3], v[9:10]
	v_fma_f64 v[9:10], v[21:22], s[2:3], -v[9:10]
	;; [unrolled: 2-line block ×6, first 2 shown]
	v_add_f64 v[21:22], v[146:147], -v[28:29]
	v_add_f64 v[44:45], v[44:45], v[172:173]
	v_add_f64 v[144:145], v[142:143], v[154:155]
	;; [unrolled: 1-line block ×3, first 2 shown]
	v_fma_f64 v[5:6], v[205:206], s[22:23], -v[7:8]
	v_fma_f64 v[7:8], v[205:206], s[22:23], v[7:8]
	v_add_f64 v[156:157], v[142:143], v[156:157]
	v_add_f64 v[197:198], v[142:143], v[11:12]
	;; [unrolled: 1-line block ×8, first 2 shown]
	v_mul_f64 v[166:167], v[21:22], s[18:19]
	v_mul_f64 v[168:169], v[21:22], s[16:17]
	;; [unrolled: 1-line block ×6, first 2 shown]
	v_fma_f64 v[3:4], v[203:204], s[22:23], v[0:1]
	v_fma_f64 v[0:1], v[203:204], s[22:23], -v[0:1]
	v_add_f64 v[164:165], v[142:143], v[164:165]
	s_mov_b32 s35, 0x3fcea1e5
	s_mov_b32 s34, s18
	v_add_f64 v[44:45], v[44:45], v[112:113]
	v_fma_f64 v[183:184], v[181:182], s[14:15], -v[166:167]
	v_fma_f64 v[185:186], v[181:182], s[2:3], -v[168:169]
	v_fma_f64 v[166:167], v[181:182], s[14:15], v[166:167]
	v_fma_f64 v[168:169], v[181:182], s[2:3], v[168:169]
	v_fma_f64 v[187:188], v[181:182], s[0:1], -v[170:171]
	v_fma_f64 v[170:171], v[181:182], s[0:1], v[170:171]
	v_fma_f64 v[189:190], v[181:182], s[10:11], -v[174:175]
	;; [unrolled: 2-line block ×3, first 2 shown]
	v_fma_f64 v[176:177], v[181:182], s[12:13], v[176:177]
	v_fma_f64 v[193:194], v[181:182], s[22:23], v[21:22]
	v_fma_f64 v[21:22], v[181:182], s[22:23], -v[21:22]
	v_add_f64 v[181:182], v[142:143], v[146:147]
	v_add_f64 v[3:4], v[3:4], v[144:145]
	;; [unrolled: 1-line block ×7, first 2 shown]
	v_mul_f64 v[9:10], v[128:129], s[16:17]
	v_add_f64 v[166:167], v[140:141], v[166:167]
	v_add_f64 v[168:169], v[140:141], v[168:169]
	;; [unrolled: 1-line block ×12, first 2 shown]
	v_fma_f64 v[11:12], v[207:208], s[2:3], v[9:10]
	v_fma_f64 v[9:10], v[207:208], s[2:3], -v[9:10]
	v_add_f64 v[7:8], v[7:8], v[166:167]
	v_mul_f64 v[166:167], v[38:39], s[20:21]
	v_add_f64 v[23:24], v[23:24], v[40:41]
	v_add_f64 v[3:4], v[11:12], v[3:4]
	v_mul_f64 v[11:12], v[126:127], s[16:17]
	v_add_f64 v[0:1], v[9:10], v[0:1]
	s_delay_alu instid0(VALU_DEP_4) | instskip(NEXT) | instid1(VALU_DEP_3)
	v_add_f64 v[23:24], v[23:24], v[32:33]
	v_fma_f64 v[13:14], v[209:210], s[2:3], -v[11:12]
	v_fma_f64 v[9:10], v[209:210], s[2:3], v[11:12]
	v_fma_f64 v[11:12], v[223:224], s[10:11], v[225:226]
	s_delay_alu instid0(VALU_DEP_4) | instskip(NEXT) | instid1(VALU_DEP_4)
	v_add_f64 v[24:25], v[23:24], v[34:35]
	v_add_f64 v[5:6], v[13:14], v[5:6]
	v_mul_f64 v[13:14], v[124:125], s[26:27]
	v_add_f64 v[7:8], v[9:10], v[7:8]
	s_delay_alu instid0(VALU_DEP_2) | instskip(SKIP_1) | instid1(VALU_DEP_2)
	v_fma_f64 v[140:141], v[211:212], s[12:13], v[13:14]
	v_fma_f64 v[9:10], v[211:212], s[12:13], -v[13:14]
	v_add_f64 v[3:4], v[140:141], v[3:4]
	v_mul_f64 v[140:141], v[122:123], s[26:27]
	s_delay_alu instid0(VALU_DEP_3) | instskip(NEXT) | instid1(VALU_DEP_2)
	v_add_f64 v[0:1], v[9:10], v[0:1]
	v_fma_f64 v[142:143], v[213:214], s[12:13], -v[140:141]
	v_fma_f64 v[9:10], v[213:214], s[12:13], v[140:141]
	v_mul_f64 v[140:141], v[130:131], s[24:25]
	s_delay_alu instid0(VALU_DEP_3) | instskip(SKIP_1) | instid1(VALU_DEP_4)
	v_add_f64 v[5:6], v[142:143], v[5:6]
	v_mul_f64 v[142:143], v[110:111], s[20:21]
	v_add_f64 v[7:8], v[9:10], v[7:8]
	s_delay_alu instid0(VALU_DEP_4) | instskip(SKIP_1) | instid1(VALU_DEP_4)
	v_fma_f64 v[13:14], v[205:206], s[10:11], -v[140:141]
	v_fma_f64 v[140:141], v[205:206], s[10:11], v[140:141]
	v_fma_f64 v[144:145], v[215:216], s[0:1], v[142:143]
	v_fma_f64 v[9:10], v[215:216], s[0:1], -v[142:143]
	v_mul_f64 v[142:143], v[128:129], s[30:31]
	v_add_f64 v[13:14], v[13:14], v[183:184]
	v_add_f64 v[140:141], v[140:141], v[168:169]
	v_mul_f64 v[183:184], v[120:121], s[20:21]
	v_mul_f64 v[168:169], v[122:123], s[28:29]
	v_add_f64 v[3:4], v[144:145], v[3:4]
	v_mul_f64 v[144:145], v[30:31], s[20:21]
	v_add_f64 v[0:1], v[9:10], v[0:1]
	s_delay_alu instid0(VALU_DEP_2) | instskip(SKIP_3) | instid1(VALU_DEP_4)
	v_fma_f64 v[9:10], v[217:218], s[0:1], v[144:145]
	v_fma_f64 v[146:147], v[217:218], s[0:1], -v[144:145]
	v_fma_f64 v[144:145], v[207:208], s[12:13], v[142:143]
	v_fma_f64 v[142:143], v[207:208], s[12:13], -v[142:143]
	v_add_f64 v[7:8], v[9:10], v[7:8]
	v_fma_f64 v[9:10], v[219:220], s[10:11], -v[221:222]
	v_add_f64 v[146:147], v[146:147], v[5:6]
	v_fma_f64 v[5:6], v[219:220], s[10:11], v[221:222]
	v_mul_f64 v[221:222], v[120:121], s[26:27]
	v_add_f64 v[7:8], v[11:12], v[7:8]
	v_add_f64 v[9:10], v[9:10], v[0:1]
	v_mul_f64 v[0:1], v[132:133], s[24:25]
	v_add_f64 v[5:6], v[5:6], v[3:4]
	v_fma_f64 v[3:4], v[223:224], s[10:11], -v[225:226]
	v_mul_f64 v[225:226], v[132:133], s[20:21]
	s_mov_b32 s25, 0x3fedeba7
	s_mov_b32 s24, s20
	s_delay_alu instid0(VALU_DEP_4) | instskip(SKIP_1) | instid1(VALU_DEP_4)
	v_fma_f64 v[11:12], v[203:204], s[10:11], v[0:1]
	v_fma_f64 v[0:1], v[203:204], s[10:11], -v[0:1]
	v_add_f64 v[3:4], v[3:4], v[146:147]
	s_delay_alu instid0(VALU_DEP_3) | instskip(NEXT) | instid1(VALU_DEP_3)
	v_add_f64 v[11:12], v[11:12], v[156:157]
	v_add_f64 v[0:1], v[0:1], v[185:186]
	v_mul_f64 v[185:186], v[30:31], s[34:35]
	s_delay_alu instid0(VALU_DEP_3) | instskip(SKIP_1) | instid1(VALU_DEP_4)
	v_add_f64 v[11:12], v[144:145], v[11:12]
	v_mul_f64 v[144:145], v[126:127], s[30:31]
	v_add_f64 v[0:1], v[142:143], v[0:1]
	s_delay_alu instid0(VALU_DEP_2) | instskip(SKIP_3) | instid1(VALU_DEP_4)
	v_fma_f64 v[146:147], v[209:210], s[12:13], -v[144:145]
	v_fma_f64 v[142:143], v[209:210], s[12:13], v[144:145]
	v_fma_f64 v[144:145], v[207:208], s[22:23], v[150:151]
	v_fma_f64 v[150:151], v[207:208], s[22:23], -v[150:151]
	v_add_f64 v[13:14], v[146:147], v[13:14]
	v_mul_f64 v[146:147], v[124:125], s[34:35]
	v_add_f64 v[140:141], v[142:143], v[140:141]
	s_delay_alu instid0(VALU_DEP_2) | instskip(SKIP_1) | instid1(VALU_DEP_2)
	v_fma_f64 v[154:155], v[211:212], s[14:15], v[146:147]
	v_fma_f64 v[142:143], v[211:212], s[14:15], -v[146:147]
	v_add_f64 v[11:12], v[154:155], v[11:12]
	v_mul_f64 v[154:155], v[122:123], s[34:35]
	s_delay_alu instid0(VALU_DEP_3) | instskip(NEXT) | instid1(VALU_DEP_2)
	v_add_f64 v[0:1], v[142:143], v[0:1]
	v_fma_f64 v[156:157], v[213:214], s[14:15], -v[154:155]
	v_fma_f64 v[142:143], v[213:214], s[14:15], v[154:155]
	s_delay_alu instid0(VALU_DEP_2) | instskip(SKIP_2) | instid1(VALU_DEP_4)
	v_add_f64 v[13:14], v[156:157], v[13:14]
	v_fma_f64 v[156:157], v[215:216], s[22:23], v[15:16]
	v_fma_f64 v[15:16], v[215:216], s[22:23], -v[15:16]
	v_add_f64 v[140:141], v[142:143], v[140:141]
	s_delay_alu instid0(VALU_DEP_3) | instskip(SKIP_1) | instid1(VALU_DEP_4)
	v_add_f64 v[11:12], v[156:157], v[11:12]
	v_fma_f64 v[156:157], v[217:218], s[22:23], -v[17:18]
	v_add_f64 v[0:1], v[15:16], v[0:1]
	v_fma_f64 v[15:16], v[217:218], s[22:23], v[17:18]
	v_fma_f64 v[17:18], v[219:220], s[0:1], -v[166:167]
	s_delay_alu instid0(VALU_DEP_4) | instskip(SKIP_1) | instid1(VALU_DEP_4)
	v_add_f64 v[156:157], v[156:157], v[13:14]
	v_fma_f64 v[13:14], v[219:220], s[0:1], v[166:167]
	v_add_f64 v[15:16], v[15:16], v[140:141]
	v_fma_f64 v[140:141], v[223:224], s[0:1], v[183:184]
	v_add_f64 v[17:18], v[17:18], v[0:1]
	v_mul_f64 v[0:1], v[132:133], s[36:37]
	v_mul_f64 v[166:167], v[124:125], s[28:29]
	;; [unrolled: 1-line block ×3, first 2 shown]
	v_add_f64 v[13:14], v[13:14], v[11:12]
	v_fma_f64 v[11:12], v[223:224], s[0:1], -v[183:184]
	v_add_f64 v[15:16], v[140:141], v[15:16]
	v_mul_f64 v[183:184], v[110:111], s[34:35]
	v_fma_f64 v[140:141], v[203:204], s[2:3], v[0:1]
	v_fma_f64 v[0:1], v[203:204], s[2:3], -v[0:1]
	v_add_f64 v[11:12], v[11:12], v[156:157]
	s_delay_alu instid0(VALU_DEP_3) | instskip(SKIP_1) | instid1(VALU_DEP_4)
	v_add_f64 v[140:141], v[140:141], v[158:159]
	v_mul_f64 v[158:159], v[130:131], s[36:37]
	v_add_f64 v[0:1], v[0:1], v[197:198]
	s_delay_alu instid0(VALU_DEP_3) | instskip(NEXT) | instid1(VALU_DEP_3)
	v_add_f64 v[140:141], v[144:145], v[140:141]
	v_fma_f64 v[142:143], v[205:206], s[2:3], -v[158:159]
	v_fma_f64 v[144:145], v[209:210], s[22:23], -v[152:153]
	v_fma_f64 v[158:159], v[205:206], s[2:3], v[158:159]
	v_add_f64 v[0:1], v[150:151], v[0:1]
	v_fma_f64 v[150:151], v[209:210], s[22:23], v[152:153]
	v_fma_f64 v[152:153], v[211:212], s[10:11], -v[166:167]
	v_add_f64 v[142:143], v[142:143], v[187:188]
	v_mul_f64 v[187:188], v[38:39], s[26:27]
	v_add_f64 v[158:159], v[158:159], v[170:171]
	v_mul_f64 v[38:39], v[38:39], s[18:19]
	v_add_f64 v[0:1], v[152:153], v[0:1]
	v_fma_f64 v[152:153], v[213:214], s[10:11], v[168:169]
	v_add_f64 v[142:143], v[144:145], v[142:143]
	v_fma_f64 v[144:145], v[211:212], s[10:11], v[166:167]
	;; [unrolled: 2-line block ×3, first 2 shown]
	s_delay_alu instid0(VALU_DEP_3) | instskip(SKIP_1) | instid1(VALU_DEP_4)
	v_add_f64 v[140:141], v[144:145], v[140:141]
	v_fma_f64 v[144:145], v[213:214], s[10:11], -v[168:169]
	v_add_f64 v[150:151], v[152:153], v[150:151]
	v_fma_f64 v[152:153], v[215:216], s[14:15], -v[183:184]
	s_delay_alu instid0(VALU_DEP_3) | instskip(SKIP_1) | instid1(VALU_DEP_3)
	v_add_f64 v[142:143], v[144:145], v[142:143]
	v_fma_f64 v[144:145], v[215:216], s[14:15], v[183:184]
	v_add_f64 v[0:1], v[152:153], v[0:1]
	v_fma_f64 v[152:153], v[217:218], s[14:15], v[185:186]
	s_delay_alu instid0(VALU_DEP_3) | instskip(SKIP_1) | instid1(VALU_DEP_3)
	v_add_f64 v[140:141], v[144:145], v[140:141]
	v_fma_f64 v[144:145], v[217:218], s[14:15], -v[185:186]
	v_add_f64 v[150:151], v[152:153], v[150:151]
	v_fma_f64 v[152:153], v[219:220], s[12:13], -v[187:188]
	s_delay_alu instid0(VALU_DEP_3) | instskip(SKIP_1) | instid1(VALU_DEP_3)
	v_add_f64 v[144:145], v[144:145], v[142:143]
	v_fma_f64 v[142:143], v[219:220], s[12:13], v[187:188]
	v_add_f64 v[152:153], v[152:153], v[0:1]
	v_add_f64 v[150:151], v[158:159], v[150:151]
	s_delay_alu instid0(VALU_DEP_3) | instskip(SKIP_1) | instid1(VALU_DEP_1)
	v_add_f64 v[142:143], v[142:143], v[140:141]
	v_fma_f64 v[140:141], v[223:224], s[12:13], -v[221:222]
	v_add_f64 v[140:141], v[140:141], v[144:145]
	v_fma_f64 v[144:145], v[203:204], s[0:1], -v[225:226]
	s_delay_alu instid0(VALU_DEP_1) | instskip(SKIP_1) | instid1(VALU_DEP_1)
	v_add_f64 v[19:20], v[144:145], v[19:20]
	v_fma_f64 v[144:145], v[205:206], s[0:1], v[227:228]
	v_add_f64 v[144:145], v[144:145], v[176:177]
	v_mul_f64 v[176:177], v[128:129], s[18:19]
	s_delay_alu instid0(VALU_DEP_1) | instskip(NEXT) | instid1(VALU_DEP_1)
	v_fma_f64 v[146:147], v[207:208], s[14:15], -v[176:177]
	v_add_f64 v[19:20], v[146:147], v[19:20]
	v_fma_f64 v[146:147], v[209:210], s[14:15], v[229:230]
	s_delay_alu instid0(VALU_DEP_1) | instskip(SKIP_1) | instid1(VALU_DEP_1)
	v_add_f64 v[144:145], v[146:147], v[144:145]
	v_fma_f64 v[146:147], v[211:212], s[2:3], -v[231:232]
	v_add_f64 v[19:20], v[146:147], v[19:20]
	v_fma_f64 v[146:147], v[213:214], s[2:3], v[233:234]
	s_delay_alu instid0(VALU_DEP_1) | instskip(SKIP_1) | instid1(VALU_DEP_1)
	v_add_f64 v[144:145], v[146:147], v[144:145]
	v_fma_f64 v[146:147], v[215:216], s[10:11], -v[235:236]
	v_add_f64 v[19:20], v[146:147], v[19:20]
	v_fma_f64 v[146:147], v[217:218], s[10:11], v[237:238]
	s_delay_alu instid0(VALU_DEP_1) | instskip(SKIP_2) | instid1(VALU_DEP_2)
	v_add_f64 v[144:145], v[146:147], v[144:145]
	v_fma_f64 v[146:147], v[219:220], s[22:23], -v[134:135]
	v_fma_f64 v[134:135], v[219:220], s[22:23], v[134:135]
	v_add_f64 v[146:147], v[146:147], v[19:20]
	v_fma_f64 v[19:20], v[223:224], s[22:23], v[136:137]
	s_delay_alu instid0(VALU_DEP_1) | instskip(SKIP_1) | instid1(VALU_DEP_1)
	v_add_f64 v[144:145], v[19:20], v[144:145]
	v_mul_f64 v[19:20], v[132:133], s[18:19]
	v_fma_f64 v[154:155], v[203:204], s[14:15], -v[19:20]
	v_fma_f64 v[0:1], v[203:204], s[14:15], v[19:20]
	s_delay_alu instid0(VALU_DEP_2) | instskip(SKIP_1) | instid1(VALU_DEP_3)
	v_add_f64 v[154:155], v[154:155], v[199:200]
	v_mul_f64 v[199:200], v[130:131], s[18:19]
	v_add_f64 v[0:1], v[0:1], v[160:161]
	v_mul_f64 v[130:131], v[130:131], s[30:31]
	s_delay_alu instid0(VALU_DEP_3) | instskip(SKIP_1) | instid1(VALU_DEP_2)
	v_fma_f64 v[156:157], v[205:206], s[14:15], v[199:200]
	v_fma_f64 v[19:20], v[205:206], s[14:15], -v[199:200]
	v_add_f64 v[156:157], v[156:157], v[174:175]
	v_mul_f64 v[174:175], v[128:129], s[24:25]
	s_delay_alu instid0(VALU_DEP_3) | instskip(SKIP_1) | instid1(VALU_DEP_3)
	v_add_f64 v[19:20], v[19:20], v[189:190]
	v_mul_f64 v[128:129], v[128:129], s[28:29]
	v_fma_f64 v[239:240], v[207:208], s[0:1], -v[174:175]
	v_fma_f64 v[158:159], v[207:208], s[0:1], v[174:175]
	s_delay_alu instid0(VALU_DEP_2) | instskip(SKIP_1) | instid1(VALU_DEP_3)
	v_add_f64 v[154:155], v[239:240], v[154:155]
	v_mul_f64 v[239:240], v[126:127], s[24:25]
	v_add_f64 v[0:1], v[158:159], v[0:1]
	v_mul_f64 v[126:127], v[126:127], s[28:29]
	s_delay_alu instid0(VALU_DEP_3) | instskip(SKIP_1) | instid1(VALU_DEP_3)
	v_fma_f64 v[241:242], v[209:210], s[0:1], v[239:240]
	v_fma_f64 v[158:159], v[209:210], s[0:1], -v[239:240]
	v_fma_f64 v[32:33], v[209:210], s[10:11], -v[126:127]
	s_delay_alu instid0(VALU_DEP_3) | instskip(SKIP_3) | instid1(VALU_DEP_3)
	v_add_f64 v[156:157], v[241:242], v[156:157]
	v_fma_f64 v[241:242], v[211:212], s[22:23], -v[138:139]
	v_fma_f64 v[138:139], v[211:212], s[22:23], v[138:139]
	v_add_f64 v[19:20], v[158:159], v[19:20]
	v_add_f64 v[154:155], v[241:242], v[154:155]
	v_fma_f64 v[241:242], v[213:214], s[22:23], v[148:149]
	s_delay_alu instid0(VALU_DEP_4) | instskip(SKIP_2) | instid1(VALU_DEP_4)
	v_add_f64 v[0:1], v[138:139], v[0:1]
	v_fma_f64 v[138:139], v[213:214], s[22:23], -v[148:149]
	v_fma_f64 v[148:149], v[223:224], s[2:3], -v[249:250]
	v_add_f64 v[156:157], v[241:242], v[156:157]
	v_mul_f64 v[241:242], v[110:111], s[30:31]
	s_delay_alu instid0(VALU_DEP_4) | instskip(SKIP_1) | instid1(VALU_DEP_3)
	v_add_f64 v[19:20], v[138:139], v[19:20]
	v_mul_f64 v[110:111], v[110:111], s[16:17]
	v_fma_f64 v[243:244], v[215:216], s[12:13], -v[241:242]
	v_fma_f64 v[138:139], v[215:216], s[12:13], v[241:242]
	s_delay_alu instid0(VALU_DEP_2) | instskip(SKIP_1) | instid1(VALU_DEP_3)
	v_add_f64 v[154:155], v[243:244], v[154:155]
	v_mul_f64 v[243:244], v[30:31], s[30:31]
	v_add_f64 v[0:1], v[138:139], v[0:1]
	v_mul_f64 v[30:31], v[30:31], s[16:17]
	s_delay_alu instid0(VALU_DEP_3) | instskip(SKIP_1) | instid1(VALU_DEP_2)
	v_fma_f64 v[138:139], v[217:218], s[12:13], -v[243:244]
	v_fma_f64 v[245:246], v[217:218], s[12:13], v[243:244]
	v_add_f64 v[19:20], v[138:139], v[19:20]
	v_fma_f64 v[138:139], v[219:220], s[2:3], v[247:248]
	s_delay_alu instid0(VALU_DEP_3) | instskip(SKIP_1) | instid1(VALU_DEP_4)
	v_add_f64 v[245:246], v[245:246], v[156:157]
	v_fma_f64 v[156:157], v[219:220], s[2:3], -v[247:248]
	v_add_f64 v[158:159], v[148:149], v[19:20]
	s_delay_alu instid0(VALU_DEP_4)
	v_add_f64 v[160:161], v[138:139], v[0:1]
	v_fma_f64 v[0:1], v[203:204], s[0:1], v[225:226]
	v_fma_f64 v[19:20], v[205:206], s[0:1], -v[227:228]
	v_fma_f64 v[138:139], v[207:208], s[14:15], v[176:177]
	v_mul_f64 v[148:149], v[120:121], s[18:19]
	v_fma_f64 v[120:121], v[219:220], s[14:15], -v[38:39]
	v_add_f64 v[156:157], v[156:157], v[154:155]
	v_fma_f64 v[154:155], v[223:224], s[2:3], v[249:250]
	v_add_f64 v[0:1], v[0:1], v[162:163]
	v_add_f64 v[19:20], v[19:20], v[191:192]
	s_delay_alu instid0(VALU_DEP_3) | instskip(NEXT) | instid1(VALU_DEP_3)
	v_add_f64 v[154:155], v[154:155], v[245:246]
	v_add_f64 v[0:1], v[138:139], v[0:1]
	v_fma_f64 v[138:139], v[209:210], s[14:15], -v[229:230]
	s_delay_alu instid0(VALU_DEP_1) | instskip(SKIP_1) | instid1(VALU_DEP_1)
	v_add_f64 v[19:20], v[138:139], v[19:20]
	v_fma_f64 v[138:139], v[211:212], s[2:3], v[231:232]
	v_add_f64 v[0:1], v[138:139], v[0:1]
	v_fma_f64 v[138:139], v[213:214], s[2:3], -v[233:234]
	s_delay_alu instid0(VALU_DEP_1) | instskip(SKIP_1) | instid1(VALU_DEP_1)
	v_add_f64 v[19:20], v[138:139], v[19:20]
	v_fma_f64 v[138:139], v[215:216], s[10:11], v[235:236]
	v_add_f64 v[0:1], v[138:139], v[0:1]
	v_fma_f64 v[138:139], v[217:218], s[10:11], -v[237:238]
	s_delay_alu instid0(VALU_DEP_1) | instskip(SKIP_1) | instid1(VALU_DEP_4)
	v_add_f64 v[19:20], v[138:139], v[19:20]
	v_fma_f64 v[138:139], v[223:224], s[22:23], -v[136:137]
	v_add_f64 v[136:137], v[134:135], v[0:1]
	v_mul_f64 v[0:1], v[132:133], s[30:31]
	v_fma_f64 v[132:133], v[205:206], s[12:13], v[130:131]
	s_delay_alu instid0(VALU_DEP_4) | instskip(SKIP_1) | instid1(VALU_DEP_4)
	v_add_f64 v[134:135], v[138:139], v[19:20]
	v_fma_f64 v[138:139], v[207:208], s[10:11], -v[128:129]
	v_fma_f64 v[19:20], v[203:204], s[12:13], -v[0:1]
	s_delay_alu instid0(VALU_DEP_4) | instskip(SKIP_1) | instid1(VALU_DEP_3)
	v_add_f64 v[132:133], v[132:133], v[193:194]
	v_fma_f64 v[0:1], v[203:204], s[12:13], v[0:1]
	v_add_f64 v[19:20], v[19:20], v[201:202]
	s_delay_alu instid0(VALU_DEP_2) | instskip(NEXT) | instid1(VALU_DEP_2)
	v_add_f64 v[0:1], v[0:1], v[164:165]
	v_add_f64 v[19:20], v[138:139], v[19:20]
	v_fma_f64 v[138:139], v[209:210], s[10:11], v[126:127]
	s_delay_alu instid0(VALU_DEP_1) | instskip(SKIP_1) | instid1(VALU_DEP_1)
	v_add_f64 v[132:133], v[138:139], v[132:133]
	v_fma_f64 v[138:139], v[211:212], s[0:1], -v[124:125]
	v_add_f64 v[19:20], v[138:139], v[19:20]
	v_mul_f64 v[138:139], v[122:123], s[20:21]
	s_delay_alu instid0(VALU_DEP_1) | instskip(SKIP_1) | instid1(VALU_DEP_2)
	v_fma_f64 v[122:123], v[213:214], s[0:1], v[138:139]
	v_fma_f64 v[34:35], v[213:214], s[0:1], -v[138:139]
	v_add_f64 v[122:123], v[122:123], v[132:133]
	v_fma_f64 v[132:133], v[215:216], s[2:3], -v[110:111]
	s_delay_alu instid0(VALU_DEP_1) | instskip(SKIP_2) | instid1(VALU_DEP_2)
	v_add_f64 v[19:20], v[132:133], v[19:20]
	v_fma_f64 v[132:133], v[217:218], s[2:3], v[30:31]
	v_fma_f64 v[30:31], v[217:218], s[2:3], -v[30:31]
	v_add_f64 v[132:133], v[132:133], v[122:123]
	s_delay_alu instid0(VALU_DEP_4) | instskip(SKIP_1) | instid1(VALU_DEP_1)
	v_add_f64 v[122:123], v[120:121], v[19:20]
	v_fma_f64 v[19:20], v[223:224], s[14:15], v[148:149]
	v_add_f64 v[120:121], v[19:20], v[132:133]
	v_add_f64 v[19:20], v[181:182], v[46:47]
	s_delay_alu instid0(VALU_DEP_1) | instskip(NEXT) | instid1(VALU_DEP_1)
	v_add_f64 v[19:20], v[19:20], v[62:63]
	v_add_f64 v[19:20], v[19:20], v[108:109]
	s_delay_alu instid0(VALU_DEP_1) | instskip(NEXT) | instid1(VALU_DEP_1)
	;; [unrolled: 3-line block ×5, first 2 shown]
	v_add_f64 v[19:20], v[19:20], v[36:37]
	v_add_f64 v[26:27], v[19:20], v[28:29]
	v_fma_f64 v[19:20], v[205:206], s[12:13], -v[130:131]
	v_fma_f64 v[28:29], v[207:208], s[10:11], v[128:129]
	s_delay_alu instid0(VALU_DEP_2) | instskip(SKIP_1) | instid1(VALU_DEP_3)
	v_add_f64 v[19:20], v[19:20], v[21:22]
	v_fma_f64 v[21:22], v[211:212], s[0:1], v[124:125]
	v_add_f64 v[0:1], v[28:29], v[0:1]
	v_fma_f64 v[28:29], v[215:216], s[2:3], v[110:111]
	s_delay_alu instid0(VALU_DEP_4) | instskip(SKIP_1) | instid1(VALU_DEP_4)
	v_add_f64 v[19:20], v[32:33], v[19:20]
	v_fma_f64 v[32:33], v[223:224], s[14:15], -v[148:149]
	v_add_f64 v[0:1], v[21:22], v[0:1]
	v_fma_f64 v[21:22], v[219:220], s[14:15], v[38:39]
	s_delay_alu instid0(VALU_DEP_4) | instskip(NEXT) | instid1(VALU_DEP_3)
	v_add_f64 v[19:20], v[34:35], v[19:20]
	v_add_f64 v[0:1], v[28:29], v[0:1]
	s_delay_alu instid0(VALU_DEP_2) | instskip(NEXT) | instid1(VALU_DEP_2)
	v_add_f64 v[19:20], v[30:31], v[19:20]
	v_add_f64 v[30:31], v[21:22], v[0:1]
	scratch_load_b32 v1, off, off offset:116 ; 4-byte Folded Reload
	v_mul_u32_u24_e32 v0, 26, v251
	v_add_f64 v[28:29], v[32:33], v[19:20]
	s_waitcnt vmcnt(0)
	s_delay_alu instid0(VALU_DEP_2) | instskip(NEXT) | instid1(VALU_DEP_1)
	v_or_b32_e32 v0, v0, v1
	v_lshlrev_b32_e32 v0, 4, v0
	ds_store_b128 v0, v[144:147] offset:64
	ds_store_b128 v0, v[154:157] offset:96
	;; [unrolled: 1-line block ×11, first 2 shown]
	ds_store_b128 v0, v[24:27]
	ds_store_b128 v0, v[28:31] offset:384
.LBB0_21:
	s_or_b32 exec_lo, exec_lo, s33
	s_waitcnt lgkmcnt(0)
	s_barrier
	buffer_gl0_inv
	ds_load_b128 v[3:6], v255 offset:2912
	ds_load_b128 v[7:10], v255 offset:5824
	;; [unrolled: 1-line block ×6, first 2 shown]
	s_mov_b32 s2, 0x37e14327
	s_mov_b32 s10, 0xe976ee23
	;; [unrolled: 1-line block ×14, first 2 shown]
	s_waitcnt lgkmcnt(5)
	v_mul_f64 v[0:1], v[58:59], v[5:6]
	v_mul_f64 v[19:20], v[58:59], v[3:4]
	s_waitcnt lgkmcnt(4)
	v_mul_f64 v[21:22], v[54:55], v[9:10]
	v_mul_f64 v[32:33], v[54:55], v[7:8]
	;; [unrolled: 3-line block ×6, first 2 shown]
	s_mov_b32 s19, 0xbfe77f67
	s_mov_b32 s23, 0x3fd5d0dc
	;; [unrolled: 1-line block ×6, first 2 shown]
	v_mad_u64_u32 v[50:51], null, s4, v178, 0
	v_fma_f64 v[0:1], v[56:57], v[3:4], v[0:1]
	v_fma_f64 v[3:4], v[56:57], v[5:6], -v[19:20]
	v_fma_f64 v[5:6], v[52:53], v[7:8], v[21:22]
	v_fma_f64 v[7:8], v[52:53], v[9:10], -v[32:33]
	;; [unrolled: 2-line block ×6, first 2 shown]
	v_add_f64 v[25:26], v[0:1], v[9:10]
	v_add_f64 v[27:28], v[3:4], v[11:12]
	;; [unrolled: 1-line block ×4, first 2 shown]
	v_add_f64 v[13:14], v[5:6], -v[13:14]
	v_add_f64 v[7:8], v[7:8], -v[15:16]
	v_add_f64 v[5:6], v[17:18], v[21:22]
	v_add_f64 v[15:16], v[19:20], v[23:24]
	v_add_f64 v[17:18], v[21:22], -v[17:18]
	v_add_f64 v[19:20], v[23:24], -v[19:20]
	;; [unrolled: 1-line block ×4, first 2 shown]
	v_add_f64 v[3:4], v[29:30], v[25:26]
	v_add_f64 v[11:12], v[31:32], v[27:28]
	v_add_f64 v[21:22], v[25:26], -v[5:6]
	v_add_f64 v[23:24], v[27:28], -v[15:16]
	;; [unrolled: 1-line block ×7, first 2 shown]
	v_add_f64 v[13:14], v[17:18], v[13:14]
	v_add_f64 v[7:8], v[19:20], v[7:8]
	v_add_f64 v[17:18], v[0:1], -v[17:18]
	v_add_f64 v[19:20], v[9:10], -v[19:20]
	;; [unrolled: 1-line block ×4, first 2 shown]
	v_add_f64 v[41:42], v[5:6], v[3:4]
	v_add_f64 v[11:12], v[15:16], v[11:12]
	v_add_f64 v[15:16], v[15:16], -v[31:32]
	ds_load_b128 v[3:6], v255
	v_mul_f64 v[21:22], v[21:22], s[2:3]
	v_mul_f64 v[23:24], v[23:24], s[2:3]
	;; [unrolled: 1-line block ×7, first 2 shown]
	v_add_f64 v[0:1], v[13:14], v[0:1]
	v_add_f64 v[7:8], v[7:8], v[9:10]
	s_waitcnt lgkmcnt(0)
	s_barrier
	buffer_gl0_inv
	v_add_f64 v[3:4], v[3:4], v[41:42]
	v_add_f64 v[5:6], v[5:6], v[11:12]
	v_mul_f64 v[31:32], v[15:16], s[12:13]
	v_fma_f64 v[9:10], v[43:44], s[12:13], v[21:22]
	v_fma_f64 v[13:14], v[15:16], s[12:13], v[23:24]
	;; [unrolled: 1-line block ×4, first 2 shown]
	v_fma_f64 v[33:34], v[37:38], s[0:1], -v[33:34]
	v_fma_f64 v[35:36], v[39:40], s[0:1], -v[35:36]
	;; [unrolled: 1-line block ×7, first 2 shown]
	v_fma_f64 v[37:38], v[41:42], s[14:15], v[3:4]
	v_fma_f64 v[11:12], v[11:12], s[14:15], v[5:6]
	v_fma_f64 v[27:28], v[27:28], s[16:17], -v[31:32]
	v_fma_f64 v[39:40], v[0:1], s[24:25], v[15:16]
	v_fma_f64 v[41:42], v[7:8], s[24:25], v[43:44]
	;; [unrolled: 1-line block ×6, first 2 shown]
	v_add_f64 v[33:34], v[9:10], v[37:38]
	v_add_f64 v[35:36], v[13:14], v[11:12]
	;; [unrolled: 1-line block ×7, first 2 shown]
	v_add_f64 v[9:10], v[35:36], -v[39:40]
	v_add_f64 v[11:12], v[19:20], v[21:22]
	v_add_f64 v[13:14], v[43:44], -v[0:1]
	v_add_f64 v[15:16], v[23:24], -v[31:32]
	v_add_f64 v[17:18], v[29:30], v[26:27]
	v_add_f64 v[24:25], v[31:32], v[23:24]
	v_add_f64 v[26:27], v[26:27], -v[29:30]
	v_add_f64 v[28:29], v[21:22], -v[19:20]
	v_add_f64 v[30:31], v[0:1], v[43:44]
	v_add_f64 v[32:33], v[33:34], -v[41:42]
	v_add_f64 v[34:35], v[39:40], v[35:36]
	ds_store_b128 v2, v[3:6]
	ds_store_b128 v2, v[7:10] offset:416
	ds_store_b128 v2, v[11:14] offset:832
	;; [unrolled: 1-line block ×6, first 2 shown]
	s_waitcnt lgkmcnt(0)
	s_barrier
	buffer_gl0_inv
	ds_load_b128 v[0:3], v255 offset:2912
	ds_load_b128 v[4:7], v255 offset:5824
	;; [unrolled: 1-line block ×6, first 2 shown]
	s_waitcnt lgkmcnt(5)
	v_mul_f64 v[20:21], v[86:87], v[2:3]
	v_mul_f64 v[22:23], v[86:87], v[0:1]
	s_waitcnt lgkmcnt(4)
	v_mul_f64 v[28:29], v[82:83], v[6:7]
	v_mul_f64 v[30:31], v[82:83], v[4:5]
	;; [unrolled: 3-line block ×6, first 2 shown]
	v_fma_f64 v[0:1], v[84:85], v[0:1], v[20:21]
	v_fma_f64 v[2:3], v[84:85], v[2:3], -v[22:23]
	v_fma_f64 v[4:5], v[80:81], v[4:5], v[28:29]
	v_fma_f64 v[6:7], v[80:81], v[6:7], -v[30:31]
	v_fma_f64 v[8:9], v[92:93], v[8:9], v[32:33]
	v_fma_f64 v[10:11], v[92:93], v[10:11], -v[34:35]
	v_fma_f64 v[12:13], v[104:105], v[12:13], v[36:37]
	v_fma_f64 v[14:15], v[104:105], v[14:15], -v[38:39]
	v_fma_f64 v[16:17], v[100:101], v[16:17], v[40:41]
	v_fma_f64 v[18:19], v[100:101], v[18:19], -v[42:43]
	v_fma_f64 v[20:21], v[96:97], v[24:25], v[44:45]
	v_fma_f64 v[22:23], v[96:97], v[26:27], -v[46:47]
	v_add_f64 v[24:25], v[0:1], v[8:9]
	v_add_f64 v[26:27], v[2:3], v[10:11]
	;; [unrolled: 1-line block ×4, first 2 shown]
	v_add_f64 v[4:5], v[4:5], -v[12:13]
	v_add_f64 v[6:7], v[6:7], -v[14:15]
	v_add_f64 v[12:13], v[16:17], v[20:21]
	v_add_f64 v[14:15], v[18:19], v[22:23]
	v_add_f64 v[16:17], v[20:21], -v[16:17]
	v_add_f64 v[18:19], v[22:23], -v[18:19]
	;; [unrolled: 1-line block ×4, first 2 shown]
	v_add_f64 v[0:1], v[28:29], v[24:25]
	v_add_f64 v[2:3], v[30:31], v[26:27]
	v_add_f64 v[20:21], v[24:25], -v[12:13]
	v_add_f64 v[22:23], v[26:27], -v[14:15]
	;; [unrolled: 1-line block ×6, first 2 shown]
	v_add_f64 v[4:5], v[16:17], v[4:5]
	v_add_f64 v[6:7], v[18:19], v[6:7]
	v_add_f64 v[16:17], v[8:9], -v[16:17]
	v_add_f64 v[18:19], v[10:11], -v[18:19]
	;; [unrolled: 1-line block ×4, first 2 shown]
	v_add_f64 v[40:41], v[12:13], v[0:1]
	v_add_f64 v[42:43], v[14:15], v[2:3]
	v_add_f64 v[12:13], v[12:13], -v[28:29]
	v_add_f64 v[14:15], v[14:15], -v[30:31]
	ds_load_b128 v[0:3], v255
	v_mul_f64 v[20:21], v[20:21], s[2:3]
	v_mul_f64 v[22:23], v[22:23], s[2:3]
	;; [unrolled: 1-line block ×6, first 2 shown]
	v_add_f64 v[4:5], v[4:5], v[8:9]
	v_add_f64 v[6:7], v[6:7], v[10:11]
	s_mov_b32 s2, 0xf5262dd1
	s_mov_b32 s3, 0x3f49b876
	s_mul_i32 s11, s5, 0xfffffe39
	s_mul_i32 s10, s4, 0xfffffe39
	s_waitcnt lgkmcnt(0)
	v_add_f64 v[0:1], v[0:1], v[40:41]
	v_add_f64 v[2:3], v[2:3], v[42:43]
	v_mul_f64 v[28:29], v[12:13], s[12:13]
	v_mul_f64 v[30:31], v[14:15], s[12:13]
	v_fma_f64 v[8:9], v[12:13], s[12:13], v[20:21]
	v_fma_f64 v[10:11], v[14:15], s[12:13], v[22:23]
	v_fma_f64 v[12:13], v[16:17], s[20:21], v[32:33]
	v_fma_f64 v[14:15], v[18:19], s[20:21], v[34:35]
	v_fma_f64 v[32:33], v[36:37], s[0:1], -v[32:33]
	v_fma_f64 v[34:35], v[38:39], s[0:1], -v[34:35]
	;; [unrolled: 1-line block ×6, first 2 shown]
	s_mul_i32 s0, s5, 0x27d
	s_mul_hi_u32 s1, s4, 0x27d
	v_fma_f64 v[36:37], v[40:41], s[14:15], v[0:1]
	v_fma_f64 v[38:39], v[42:43], s[14:15], v[2:3]
	v_fma_f64 v[24:25], v[24:25], s[16:17], -v[28:29]
	v_fma_f64 v[26:27], v[26:27], s[16:17], -v[30:31]
	v_fma_f64 v[30:31], v[4:5], s[24:25], v[12:13]
	v_fma_f64 v[28:29], v[6:7], s[24:25], v[14:15]
	;; [unrolled: 1-line block ×6, first 2 shown]
	v_add_f64 v[44:45], v[8:9], v[36:37]
	v_add_f64 v[46:47], v[10:11], v[38:39]
	;; [unrolled: 1-line block ×7, first 2 shown]
	v_add_f64 v[6:7], v[46:47], -v[30:31]
	v_add_f64 v[8:9], v[42:43], v[20:21]
	v_add_f64 v[10:11], v[22:23], -v[40:41]
	v_add_f64 v[12:13], v[16:17], -v[34:35]
	v_add_f64 v[14:15], v[32:33], v[18:19]
	v_add_f64 v[16:17], v[34:35], v[16:17]
	v_add_f64 v[18:19], v[18:19], -v[32:33]
	v_add_f64 v[24:25], v[20:21], -v[42:43]
	v_add_f64 v[26:27], v[40:41], v[22:23]
	v_add_f64 v[28:29], v[44:45], -v[28:29]
	v_add_f64 v[30:31], v[30:31], v[46:47]
	ds_store_b128 v255, v[0:3]
	ds_store_b128 v255, v[4:7] offset:2912
	ds_store_b128 v255, v[8:11] offset:5824
	;; [unrolled: 1-line block ×6, first 2 shown]
	s_waitcnt lgkmcnt(0)
	s_barrier
	buffer_gl0_inv
	ds_load_b128 v[0:3], v255
	ds_load_b128 v[4:7], v255 offset:10192
	ds_load_b128 v[8:11], v255 offset:2912
	;; [unrolled: 1-line block ×5, first 2 shown]
	s_clause 0x2
	scratch_load_b128 v[53:56], off, off offset:12
	scratch_load_b64 v[48:49], off, off
	scratch_load_b128 v[59:62], off, off offset:52
	s_waitcnt vmcnt(2) lgkmcnt(5)
	v_mul_f64 v[20:21], v[55:56], v[2:3]
	v_mul_f64 v[22:23], v[55:56], v[0:1]
	scratch_load_b128 v[55:58], off, off offset:36 ; 16-byte Folded Reload
	s_waitcnt vmcnt(1) lgkmcnt(4)
	v_mul_f64 v[28:29], v[61:62], v[6:7]
	v_mul_f64 v[30:31], v[61:62], v[4:5]
	scratch_load_b128 v[61:64], off, off offset:68 ; 16-byte Folded Reload
	v_mov_b32_e32 v52, v48
	v_fma_f64 v[0:1], v[53:54], v[0:1], v[20:21]
	v_fma_f64 v[20:21], v[53:54], v[2:3], -v[22:23]
	v_mov_b32_e32 v3, v51
	v_fma_f64 v[22:23], v[59:60], v[4:5], v[28:29]
	v_fma_f64 v[28:29], v[59:60], v[6:7], -v[30:31]
	v_mad_u64_u32 v[48:49], null, s6, v52, 0
	s_mul_i32 s6, s4, 0x27d
	s_delay_alu instid0(VALU_DEP_1) | instskip(NEXT) | instid1(VALU_DEP_1)
	v_mov_b32_e32 v2, v49
	v_mad_u64_u32 v[4:5], null, s7, v52, v[2:3]
	s_add_i32 s7, s1, s0
	s_delay_alu instid0(VALU_DEP_1) | instskip(SKIP_2) | instid1(SALU_CYCLE_1)
	v_mov_b32_e32 v49, v4
	v_mad_u64_u32 v[5:6], null, s5, v178, v[3:4]
	s_mul_hi_u32 s5, s4, 0xfffffe39
	s_sub_i32 s1, s5, s4
	s_lshl_b64 s[4:5], s[6:7], 4
	s_add_i32 s11, s1, s11
	s_delay_alu instid0(VALU_DEP_1)
	v_mov_b32_e32 v51, v5
	s_lshl_b64 s[6:7], s[10:11], 4
	v_mul_f64 v[2:3], v[0:1], s[2:3]
	v_mul_f64 v[4:5], v[20:21], s[2:3]
	;; [unrolled: 1-line block ×3, first 2 shown]
	s_waitcnt vmcnt(1) lgkmcnt(3)
	v_mul_f64 v[32:33], v[57:58], v[10:11]
	v_mul_f64 v[34:35], v[57:58], v[8:9]
	s_waitcnt vmcnt(0) lgkmcnt(2)
	v_mul_f64 v[36:37], v[63:64], v[14:15]
	v_mul_f64 v[38:39], v[63:64], v[12:13]
	scratch_load_b128 v[63:66], off, off offset:84 ; 16-byte Folded Reload
	v_fma_f64 v[30:31], v[55:56], v[8:9], v[32:33]
	v_fma_f64 v[32:33], v[55:56], v[10:11], -v[34:35]
	v_mul_f64 v[8:9], v[28:29], s[2:3]
	v_fma_f64 v[34:35], v[61:62], v[12:13], v[36:37]
	v_fma_f64 v[36:37], v[61:62], v[14:15], -v[38:39]
	v_mul_f64 v[10:11], v[30:31], s[2:3]
	v_mul_f64 v[12:13], v[32:33], s[2:3]
	s_delay_alu instid0(VALU_DEP_4)
	v_mul_f64 v[14:15], v[34:35], s[2:3]
	s_waitcnt vmcnt(0) lgkmcnt(1)
	v_mul_f64 v[40:41], v[65:66], v[18:19]
	v_mul_f64 v[42:43], v[65:66], v[16:17]
	scratch_load_b128 v[65:68], off, off offset:100 ; 16-byte Folded Reload
	v_fma_f64 v[38:39], v[63:64], v[16:17], v[40:41]
	v_fma_f64 v[40:41], v[63:64], v[18:19], -v[42:43]
	v_lshlrev_b64 v[42:43], 4, v[48:49]
	v_mul_f64 v[16:17], v[36:37], s[2:3]
	s_delay_alu instid0(VALU_DEP_2) | instskip(NEXT) | instid1(VALU_DEP_1)
	v_add_co_u32 v0, s0, s8, v42
	v_add_co_ci_u32_e64 v1, s0, s9, v43, s0
	v_mul_f64 v[18:19], v[38:39], s[2:3]
	v_mul_f64 v[20:21], v[40:41], s[2:3]
	s_waitcnt vmcnt(0) lgkmcnt(0)
	v_mul_f64 v[44:45], v[67:68], v[26:27]
	v_mul_f64 v[46:47], v[67:68], v[24:25]
	s_delay_alu instid0(VALU_DEP_2) | instskip(NEXT) | instid1(VALU_DEP_2)
	v_fma_f64 v[24:25], v[65:66], v[24:25], v[44:45]
	v_fma_f64 v[26:27], v[65:66], v[26:27], -v[46:47]
	v_lshlrev_b64 v[44:45], 4, v[50:51]
	s_delay_alu instid0(VALU_DEP_3) | instskip(NEXT) | instid1(VALU_DEP_3)
	v_mul_f64 v[22:23], v[24:25], s[2:3]
	v_mul_f64 v[24:25], v[26:27], s[2:3]
	s_delay_alu instid0(VALU_DEP_3) | instskip(NEXT) | instid1(VALU_DEP_1)
	v_add_co_u32 v26, s0, v0, v44
	v_add_co_ci_u32_e64 v27, s0, v1, v45, s0
	s_delay_alu instid0(VALU_DEP_2) | instskip(NEXT) | instid1(VALU_DEP_1)
	v_add_co_u32 v28, s0, v26, s4
	v_add_co_ci_u32_e64 v29, s0, s5, v27, s0
	s_delay_alu instid0(VALU_DEP_2) | instskip(NEXT) | instid1(VALU_DEP_1)
	;; [unrolled: 3-line block ×5, first 2 shown]
	v_add_co_u32 v0, s0, v34, s4
	v_add_co_ci_u32_e64 v1, s0, s5, v35, s0
	s_clause 0x4
	global_store_b128 v[26:27], v[2:5], off
	global_store_b128 v[28:29], v[6:9], off
	;; [unrolled: 1-line block ×6, first 2 shown]
	s_and_b32 exec_lo, exec_lo, vcc_lo
	s_cbranch_execz .LBB0_23
; %bb.22:
	scratch_load_b64 v[2:3], off, off offset:28 ; 8-byte Folded Reload
	v_add_co_u32 v0, vcc_lo, v0, s6
	v_add_co_ci_u32_e32 v1, vcc_lo, s7, v1, vcc_lo
	s_waitcnt vmcnt(0)
	s_clause 0x1
	global_load_b128 v[2:5], v[2:3], off offset:544
	global_load_b128 v[6:9], v[179:180], off offset:2544
	ds_load_b128 v[10:13], v255 offset:8736
	ds_load_b128 v[14:17], v255 offset:18928
	s_waitcnt vmcnt(1) lgkmcnt(1)
	v_mul_f64 v[18:19], v[12:13], v[4:5]
	v_mul_f64 v[4:5], v[10:11], v[4:5]
	s_waitcnt vmcnt(0) lgkmcnt(0)
	v_mul_f64 v[20:21], v[16:17], v[8:9]
	v_mul_f64 v[8:9], v[14:15], v[8:9]
	s_delay_alu instid0(VALU_DEP_4) | instskip(NEXT) | instid1(VALU_DEP_4)
	v_fma_f64 v[10:11], v[10:11], v[2:3], v[18:19]
	v_fma_f64 v[4:5], v[2:3], v[12:13], -v[4:5]
	s_delay_alu instid0(VALU_DEP_4) | instskip(NEXT) | instid1(VALU_DEP_4)
	v_fma_f64 v[12:13], v[14:15], v[6:7], v[20:21]
	v_fma_f64 v[8:9], v[6:7], v[16:17], -v[8:9]
	s_delay_alu instid0(VALU_DEP_4) | instskip(NEXT) | instid1(VALU_DEP_4)
	v_mul_f64 v[2:3], v[10:11], s[2:3]
	v_mul_f64 v[4:5], v[4:5], s[2:3]
	s_delay_alu instid0(VALU_DEP_4) | instskip(NEXT) | instid1(VALU_DEP_4)
	v_mul_f64 v[6:7], v[12:13], s[2:3]
	v_mul_f64 v[8:9], v[8:9], s[2:3]
	v_add_co_u32 v10, vcc_lo, v0, s4
	v_add_co_ci_u32_e32 v11, vcc_lo, s5, v1, vcc_lo
	global_store_b128 v[0:1], v[2:5], off
	global_store_b128 v[10:11], v[6:9], off
.LBB0_23:
	s_nop 0
	s_sendmsg sendmsg(MSG_DEALLOC_VGPRS)
	s_endpgm
	.section	.rodata,"a",@progbits
	.p2align	6, 0x0
	.amdhsa_kernel bluestein_single_fwd_len1274_dim1_dp_op_CI_CI
		.amdhsa_group_segment_fixed_size 20384
		.amdhsa_private_segment_fixed_size 320
		.amdhsa_kernarg_size 104
		.amdhsa_user_sgpr_count 15
		.amdhsa_user_sgpr_dispatch_ptr 0
		.amdhsa_user_sgpr_queue_ptr 0
		.amdhsa_user_sgpr_kernarg_segment_ptr 1
		.amdhsa_user_sgpr_dispatch_id 0
		.amdhsa_user_sgpr_private_segment_size 0
		.amdhsa_wavefront_size32 1
		.amdhsa_uses_dynamic_stack 0
		.amdhsa_enable_private_segment 1
		.amdhsa_system_sgpr_workgroup_id_x 1
		.amdhsa_system_sgpr_workgroup_id_y 0
		.amdhsa_system_sgpr_workgroup_id_z 0
		.amdhsa_system_sgpr_workgroup_info 0
		.amdhsa_system_vgpr_workitem_id 0
		.amdhsa_next_free_vgpr 256
		.amdhsa_next_free_sgpr 42
		.amdhsa_reserve_vcc 1
		.amdhsa_float_round_mode_32 0
		.amdhsa_float_round_mode_16_64 0
		.amdhsa_float_denorm_mode_32 3
		.amdhsa_float_denorm_mode_16_64 3
		.amdhsa_dx10_clamp 1
		.amdhsa_ieee_mode 1
		.amdhsa_fp16_overflow 0
		.amdhsa_workgroup_processor_mode 1
		.amdhsa_memory_ordered 1
		.amdhsa_forward_progress 0
		.amdhsa_shared_vgpr_count 0
		.amdhsa_exception_fp_ieee_invalid_op 0
		.amdhsa_exception_fp_denorm_src 0
		.amdhsa_exception_fp_ieee_div_zero 0
		.amdhsa_exception_fp_ieee_overflow 0
		.amdhsa_exception_fp_ieee_underflow 0
		.amdhsa_exception_fp_ieee_inexact 0
		.amdhsa_exception_int_div_zero 0
	.end_amdhsa_kernel
	.text
.Lfunc_end0:
	.size	bluestein_single_fwd_len1274_dim1_dp_op_CI_CI, .Lfunc_end0-bluestein_single_fwd_len1274_dim1_dp_op_CI_CI
                                        ; -- End function
	.section	.AMDGPU.csdata,"",@progbits
; Kernel info:
; codeLenInByte = 18492
; NumSgprs: 44
; NumVgprs: 256
; ScratchSize: 320
; MemoryBound: 0
; FloatMode: 240
; IeeeMode: 1
; LDSByteSize: 20384 bytes/workgroup (compile time only)
; SGPRBlocks: 5
; VGPRBlocks: 31
; NumSGPRsForWavesPerEU: 44
; NumVGPRsForWavesPerEU: 256
; Occupancy: 5
; WaveLimiterHint : 1
; COMPUTE_PGM_RSRC2:SCRATCH_EN: 1
; COMPUTE_PGM_RSRC2:USER_SGPR: 15
; COMPUTE_PGM_RSRC2:TRAP_HANDLER: 0
; COMPUTE_PGM_RSRC2:TGID_X_EN: 1
; COMPUTE_PGM_RSRC2:TGID_Y_EN: 0
; COMPUTE_PGM_RSRC2:TGID_Z_EN: 0
; COMPUTE_PGM_RSRC2:TIDIG_COMP_CNT: 0
	.text
	.p2alignl 7, 3214868480
	.fill 96, 4, 3214868480
	.type	__hip_cuid_fcb18c5aeda97b91,@object ; @__hip_cuid_fcb18c5aeda97b91
	.section	.bss,"aw",@nobits
	.globl	__hip_cuid_fcb18c5aeda97b91
__hip_cuid_fcb18c5aeda97b91:
	.byte	0                               ; 0x0
	.size	__hip_cuid_fcb18c5aeda97b91, 1

	.ident	"AMD clang version 19.0.0git (https://github.com/RadeonOpenCompute/llvm-project roc-6.4.0 25133 c7fe45cf4b819c5991fe208aaa96edf142730f1d)"
	.section	".note.GNU-stack","",@progbits
	.addrsig
	.addrsig_sym __hip_cuid_fcb18c5aeda97b91
	.amdgpu_metadata
---
amdhsa.kernels:
  - .args:
      - .actual_access:  read_only
        .address_space:  global
        .offset:         0
        .size:           8
        .value_kind:     global_buffer
      - .actual_access:  read_only
        .address_space:  global
        .offset:         8
        .size:           8
        .value_kind:     global_buffer
      - .actual_access:  read_only
        .address_space:  global
        .offset:         16
        .size:           8
        .value_kind:     global_buffer
      - .actual_access:  read_only
        .address_space:  global
        .offset:         24
        .size:           8
        .value_kind:     global_buffer
      - .actual_access:  read_only
        .address_space:  global
        .offset:         32
        .size:           8
        .value_kind:     global_buffer
      - .offset:         40
        .size:           8
        .value_kind:     by_value
      - .address_space:  global
        .offset:         48
        .size:           8
        .value_kind:     global_buffer
      - .address_space:  global
        .offset:         56
        .size:           8
        .value_kind:     global_buffer
      - .address_space:  global
        .offset:         64
        .size:           8
        .value_kind:     global_buffer
      - .address_space:  global
        .offset:         72
        .size:           8
        .value_kind:     global_buffer
      - .offset:         80
        .size:           4
        .value_kind:     by_value
      - .address_space:  global
        .offset:         88
        .size:           8
        .value_kind:     global_buffer
      - .address_space:  global
        .offset:         96
        .size:           8
        .value_kind:     global_buffer
    .group_segment_fixed_size: 20384
    .kernarg_segment_align: 8
    .kernarg_segment_size: 104
    .language:       OpenCL C
    .language_version:
      - 2
      - 0
    .max_flat_workgroup_size: 182
    .name:           bluestein_single_fwd_len1274_dim1_dp_op_CI_CI
    .private_segment_fixed_size: 320
    .sgpr_count:     44
    .sgpr_spill_count: 0
    .symbol:         bluestein_single_fwd_len1274_dim1_dp_op_CI_CI.kd
    .uniform_work_group_size: 1
    .uses_dynamic_stack: false
    .vgpr_count:     256
    .vgpr_spill_count: 79
    .wavefront_size: 32
    .workgroup_processor_mode: 1
amdhsa.target:   amdgcn-amd-amdhsa--gfx1100
amdhsa.version:
  - 1
  - 2
...

	.end_amdgpu_metadata
